;; amdgpu-corpus repo=ROCm/rocFFT kind=compiled arch=gfx1030 opt=O3
	.text
	.amdgcn_target "amdgcn-amd-amdhsa--gfx1030"
	.amdhsa_code_object_version 6
	.protected	fft_rtc_back_len1400_factors_2_2_2_5_7_5_wgs_56_tpt_56_halfLds_sp_op_CI_CI_unitstride_sbrr_R2C_dirReg ; -- Begin function fft_rtc_back_len1400_factors_2_2_2_5_7_5_wgs_56_tpt_56_halfLds_sp_op_CI_CI_unitstride_sbrr_R2C_dirReg
	.globl	fft_rtc_back_len1400_factors_2_2_2_5_7_5_wgs_56_tpt_56_halfLds_sp_op_CI_CI_unitstride_sbrr_R2C_dirReg
	.p2align	8
	.type	fft_rtc_back_len1400_factors_2_2_2_5_7_5_wgs_56_tpt_56_halfLds_sp_op_CI_CI_unitstride_sbrr_R2C_dirReg,@function
fft_rtc_back_len1400_factors_2_2_2_5_7_5_wgs_56_tpt_56_halfLds_sp_op_CI_CI_unitstride_sbrr_R2C_dirReg: ; @fft_rtc_back_len1400_factors_2_2_2_5_7_5_wgs_56_tpt_56_halfLds_sp_op_CI_CI_unitstride_sbrr_R2C_dirReg
; %bb.0:
	s_clause 0x2
	s_load_dwordx4 s[12:15], s[4:5], 0x0
	s_load_dwordx4 s[8:11], s[4:5], 0x58
	;; [unrolled: 1-line block ×3, first 2 shown]
	v_mul_u32_u24_e32 v1, 0x493, v0
	v_mov_b32_e32 v3, 0
	v_add_nc_u32_sdwa v5, s6, v1 dst_sel:DWORD dst_unused:UNUSED_PAD src0_sel:DWORD src1_sel:WORD_1
	v_mov_b32_e32 v1, 0
	v_mov_b32_e32 v6, v3
	v_mov_b32_e32 v2, 0
	s_waitcnt lgkmcnt(0)
	v_cmp_lt_u64_e64 s0, s[14:15], 2
	s_and_b32 vcc_lo, exec_lo, s0
	s_cbranch_vccnz .LBB0_8
; %bb.1:
	s_load_dwordx2 s[0:1], s[4:5], 0x10
	v_mov_b32_e32 v1, 0
	v_mov_b32_e32 v2, 0
	s_add_u32 s2, s18, 8
	s_addc_u32 s3, s19, 0
	s_add_u32 s6, s16, 8
	s_addc_u32 s7, s17, 0
	v_mov_b32_e32 v51, v2
	v_mov_b32_e32 v50, v1
	s_mov_b64 s[22:23], 1
	s_waitcnt lgkmcnt(0)
	s_add_u32 s20, s0, 8
	s_addc_u32 s21, s1, 0
.LBB0_2:                                ; =>This Inner Loop Header: Depth=1
	s_load_dwordx2 s[24:25], s[20:21], 0x0
                                        ; implicit-def: $vgpr52_vgpr53
	s_mov_b32 s0, exec_lo
	s_waitcnt lgkmcnt(0)
	v_or_b32_e32 v4, s25, v6
	v_cmpx_ne_u64_e32 0, v[3:4]
	s_xor_b32 s1, exec_lo, s0
	s_cbranch_execz .LBB0_4
; %bb.3:                                ;   in Loop: Header=BB0_2 Depth=1
	v_cvt_f32_u32_e32 v4, s24
	v_cvt_f32_u32_e32 v7, s25
	s_sub_u32 s0, 0, s24
	s_subb_u32 s26, 0, s25
	v_fmac_f32_e32 v4, 0x4f800000, v7
	v_rcp_f32_e32 v4, v4
	v_mul_f32_e32 v4, 0x5f7ffffc, v4
	v_mul_f32_e32 v7, 0x2f800000, v4
	v_trunc_f32_e32 v7, v7
	v_fmac_f32_e32 v4, 0xcf800000, v7
	v_cvt_u32_f32_e32 v7, v7
	v_cvt_u32_f32_e32 v4, v4
	v_mul_lo_u32 v8, s0, v7
	v_mul_hi_u32 v9, s0, v4
	v_mul_lo_u32 v10, s26, v4
	v_add_nc_u32_e32 v8, v9, v8
	v_mul_lo_u32 v9, s0, v4
	v_add_nc_u32_e32 v8, v8, v10
	v_mul_hi_u32 v10, v4, v9
	v_mul_lo_u32 v11, v4, v8
	v_mul_hi_u32 v12, v4, v8
	v_mul_hi_u32 v13, v7, v9
	v_mul_lo_u32 v9, v7, v9
	v_mul_hi_u32 v14, v7, v8
	v_mul_lo_u32 v8, v7, v8
	v_add_co_u32 v10, vcc_lo, v10, v11
	v_add_co_ci_u32_e32 v11, vcc_lo, 0, v12, vcc_lo
	v_add_co_u32 v9, vcc_lo, v10, v9
	v_add_co_ci_u32_e32 v9, vcc_lo, v11, v13, vcc_lo
	v_add_co_ci_u32_e32 v10, vcc_lo, 0, v14, vcc_lo
	v_add_co_u32 v8, vcc_lo, v9, v8
	v_add_co_ci_u32_e32 v9, vcc_lo, 0, v10, vcc_lo
	v_add_co_u32 v4, vcc_lo, v4, v8
	v_add_co_ci_u32_e32 v7, vcc_lo, v7, v9, vcc_lo
	v_mul_hi_u32 v8, s0, v4
	v_mul_lo_u32 v10, s26, v4
	v_mul_lo_u32 v9, s0, v7
	v_add_nc_u32_e32 v8, v8, v9
	v_mul_lo_u32 v9, s0, v4
	v_add_nc_u32_e32 v8, v8, v10
	v_mul_hi_u32 v10, v4, v9
	v_mul_lo_u32 v11, v4, v8
	v_mul_hi_u32 v12, v4, v8
	v_mul_hi_u32 v13, v7, v9
	v_mul_lo_u32 v9, v7, v9
	v_mul_hi_u32 v14, v7, v8
	v_mul_lo_u32 v8, v7, v8
	v_add_co_u32 v10, vcc_lo, v10, v11
	v_add_co_ci_u32_e32 v11, vcc_lo, 0, v12, vcc_lo
	v_add_co_u32 v9, vcc_lo, v10, v9
	v_add_co_ci_u32_e32 v9, vcc_lo, v11, v13, vcc_lo
	v_add_co_ci_u32_e32 v10, vcc_lo, 0, v14, vcc_lo
	v_add_co_u32 v8, vcc_lo, v9, v8
	v_add_co_ci_u32_e32 v9, vcc_lo, 0, v10, vcc_lo
	v_add_co_u32 v4, vcc_lo, v4, v8
	v_add_co_ci_u32_e32 v11, vcc_lo, v7, v9, vcc_lo
	v_mul_hi_u32 v13, v5, v4
	v_mad_u64_u32 v[9:10], null, v6, v4, 0
	v_mad_u64_u32 v[7:8], null, v5, v11, 0
	;; [unrolled: 1-line block ×3, first 2 shown]
	v_add_co_u32 v4, vcc_lo, v13, v7
	v_add_co_ci_u32_e32 v7, vcc_lo, 0, v8, vcc_lo
	v_add_co_u32 v4, vcc_lo, v4, v9
	v_add_co_ci_u32_e32 v4, vcc_lo, v7, v10, vcc_lo
	v_add_co_ci_u32_e32 v7, vcc_lo, 0, v12, vcc_lo
	v_add_co_u32 v4, vcc_lo, v4, v11
	v_add_co_ci_u32_e32 v9, vcc_lo, 0, v7, vcc_lo
	v_mul_lo_u32 v10, s25, v4
	v_mad_u64_u32 v[7:8], null, s24, v4, 0
	v_mul_lo_u32 v11, s24, v9
	v_sub_co_u32 v7, vcc_lo, v5, v7
	v_add3_u32 v8, v8, v11, v10
	v_sub_nc_u32_e32 v10, v6, v8
	v_subrev_co_ci_u32_e64 v10, s0, s25, v10, vcc_lo
	v_add_co_u32 v11, s0, v4, 2
	v_add_co_ci_u32_e64 v12, s0, 0, v9, s0
	v_sub_co_u32 v13, s0, v7, s24
	v_sub_co_ci_u32_e32 v8, vcc_lo, v6, v8, vcc_lo
	v_subrev_co_ci_u32_e64 v10, s0, 0, v10, s0
	v_cmp_le_u32_e32 vcc_lo, s24, v13
	v_cmp_eq_u32_e64 s0, s25, v8
	v_cndmask_b32_e64 v13, 0, -1, vcc_lo
	v_cmp_le_u32_e32 vcc_lo, s25, v10
	v_cndmask_b32_e64 v14, 0, -1, vcc_lo
	v_cmp_le_u32_e32 vcc_lo, s24, v7
	;; [unrolled: 2-line block ×3, first 2 shown]
	v_cndmask_b32_e64 v15, 0, -1, vcc_lo
	v_cmp_eq_u32_e32 vcc_lo, s25, v10
	v_cndmask_b32_e64 v7, v15, v7, s0
	v_cndmask_b32_e32 v10, v14, v13, vcc_lo
	v_add_co_u32 v13, vcc_lo, v4, 1
	v_add_co_ci_u32_e32 v14, vcc_lo, 0, v9, vcc_lo
	v_cmp_ne_u32_e32 vcc_lo, 0, v10
	v_cndmask_b32_e32 v8, v14, v12, vcc_lo
	v_cndmask_b32_e32 v10, v13, v11, vcc_lo
	v_cmp_ne_u32_e32 vcc_lo, 0, v7
	v_cndmask_b32_e32 v53, v9, v8, vcc_lo
	v_cndmask_b32_e32 v52, v4, v10, vcc_lo
.LBB0_4:                                ;   in Loop: Header=BB0_2 Depth=1
	s_andn2_saveexec_b32 s0, s1
	s_cbranch_execz .LBB0_6
; %bb.5:                                ;   in Loop: Header=BB0_2 Depth=1
	v_cvt_f32_u32_e32 v4, s24
	s_sub_i32 s1, 0, s24
	v_mov_b32_e32 v53, v3
	v_rcp_iflag_f32_e32 v4, v4
	v_mul_f32_e32 v4, 0x4f7ffffe, v4
	v_cvt_u32_f32_e32 v4, v4
	v_mul_lo_u32 v7, s1, v4
	v_mul_hi_u32 v7, v4, v7
	v_add_nc_u32_e32 v4, v4, v7
	v_mul_hi_u32 v4, v5, v4
	v_mul_lo_u32 v7, v4, s24
	v_add_nc_u32_e32 v8, 1, v4
	v_sub_nc_u32_e32 v7, v5, v7
	v_subrev_nc_u32_e32 v9, s24, v7
	v_cmp_le_u32_e32 vcc_lo, s24, v7
	v_cndmask_b32_e32 v7, v7, v9, vcc_lo
	v_cndmask_b32_e32 v4, v4, v8, vcc_lo
	v_cmp_le_u32_e32 vcc_lo, s24, v7
	v_add_nc_u32_e32 v8, 1, v4
	v_cndmask_b32_e32 v52, v4, v8, vcc_lo
.LBB0_6:                                ;   in Loop: Header=BB0_2 Depth=1
	s_or_b32 exec_lo, exec_lo, s0
	v_mul_lo_u32 v4, v53, s24
	v_mul_lo_u32 v9, v52, s25
	s_load_dwordx2 s[0:1], s[6:7], 0x0
	v_mad_u64_u32 v[7:8], null, v52, s24, 0
	s_load_dwordx2 s[24:25], s[2:3], 0x0
	s_add_u32 s22, s22, 1
	s_addc_u32 s23, s23, 0
	s_add_u32 s2, s2, 8
	s_addc_u32 s3, s3, 0
	s_add_u32 s6, s6, 8
	v_add3_u32 v4, v8, v9, v4
	v_sub_co_u32 v5, vcc_lo, v5, v7
	s_addc_u32 s7, s7, 0
	s_add_u32 s20, s20, 8
	v_sub_co_ci_u32_e32 v4, vcc_lo, v6, v4, vcc_lo
	s_addc_u32 s21, s21, 0
	s_waitcnt lgkmcnt(0)
	v_mul_lo_u32 v6, s0, v4
	v_mul_lo_u32 v7, s1, v5
	v_mad_u64_u32 v[1:2], null, s0, v5, v[1:2]
	v_mul_lo_u32 v4, s24, v4
	v_mul_lo_u32 v8, s25, v5
	v_mad_u64_u32 v[50:51], null, s24, v5, v[50:51]
	v_cmp_ge_u64_e64 s0, s[22:23], s[14:15]
	v_add3_u32 v2, v7, v2, v6
	v_add3_u32 v51, v8, v51, v4
	s_and_b32 vcc_lo, exec_lo, s0
	s_cbranch_vccnz .LBB0_9
; %bb.7:                                ;   in Loop: Header=BB0_2 Depth=1
	v_mov_b32_e32 v5, v52
	v_mov_b32_e32 v6, v53
	s_branch .LBB0_2
.LBB0_8:
	v_mov_b32_e32 v51, v2
	v_mov_b32_e32 v53, v6
	;; [unrolled: 1-line block ×4, first 2 shown]
.LBB0_9:
	s_load_dwordx2 s[0:1], s[4:5], 0x28
	v_mul_hi_u32 v3, 0x4924925, v0
	s_lshl_b64 s[4:5], s[14:15], 3
                                        ; implicit-def: $vgpr48
                                        ; implicit-def: $vgpr54
                                        ; implicit-def: $vgpr67
                                        ; implicit-def: $vgpr66
                                        ; implicit-def: $vgpr65
                                        ; implicit-def: $vgpr64
                                        ; implicit-def: $vgpr63
                                        ; implicit-def: $vgpr62
                                        ; implicit-def: $vgpr58
                                        ; implicit-def: $vgpr61
                                        ; implicit-def: $vgpr60
                                        ; implicit-def: $vgpr57
                                        ; implicit-def: $vgpr56
	s_add_u32 s2, s18, s4
	s_addc_u32 s3, s19, s5
	s_waitcnt lgkmcnt(0)
	v_cmp_gt_u64_e32 vcc_lo, s[0:1], v[52:53]
	v_cmp_le_u64_e64 s0, s[0:1], v[52:53]
	s_and_saveexec_b32 s1, s0
	s_xor_b32 s0, exec_lo, s1
	s_cbranch_execz .LBB0_11
; %bb.10:
	v_mul_u32_u24_e32 v1, 56, v3
                                        ; implicit-def: $vgpr3
	v_sub_nc_u32_e32 v48, v0, v1
                                        ; implicit-def: $vgpr0
                                        ; implicit-def: $vgpr1_vgpr2
	v_add_nc_u32_e32 v54, 56, v48
	v_add_nc_u32_e32 v67, 0x70, v48
	;; [unrolled: 1-line block ×7, first 2 shown]
	v_or_b32_e32 v58, 0x1c0, v48
	v_add_nc_u32_e32 v61, 0x1f8, v48
	v_add_nc_u32_e32 v60, 0x230, v48
	;; [unrolled: 1-line block ×4, first 2 shown]
.LBB0_11:
	s_andn2_saveexec_b32 s1, s0
	s_cbranch_execz .LBB0_13
; %bb.12:
	s_add_u32 s4, s16, s4
	s_addc_u32 s5, s17, s5
	v_mul_u32_u24_e32 v3, 56, v3
	s_load_dwordx2 s[4:5], s[4:5], 0x0
	v_sub_nc_u32_e32 v48, v0, v3
	v_lshlrev_b64 v[0:1], 3, v[1:2]
	v_or_b32_e32 v58, 0x1c0, v48
	v_lshlrev_b32_e32 v49, 3, v48
	v_add_nc_u32_e32 v54, 56, v48
	v_add_nc_u32_e32 v67, 0x70, v48
	;; [unrolled: 1-line block ×3, first 2 shown]
	v_lshlrev_b32_e32 v2, 3, v58
	v_or_b32_e32 v8, 0x2a00, v49
	v_add_nc_u32_e32 v65, 0xe0, v48
	v_add_nc_u32_e32 v64, 0x118, v48
	;; [unrolled: 1-line block ×4, first 2 shown]
	s_waitcnt lgkmcnt(0)
	v_mul_lo_u32 v6, s5, v52
	v_mul_lo_u32 v7, s4, v53
	v_mad_u64_u32 v[4:5], null, s4, v52, 0
	v_add_nc_u32_e32 v61, 0x1f8, v48
	v_add_nc_u32_e32 v60, 0x230, v48
	;; [unrolled: 1-line block ×4, first 2 shown]
	v_add3_u32 v5, v5, v7, v6
	v_lshlrev_b64 v[3:4], 3, v[4:5]
	v_or_b32_e32 v5, 0x1c00, v49
	v_add_co_u32 v3, s0, s8, v3
	v_add_co_ci_u32_e64 v4, s0, s9, v4, s0
	v_add_co_u32 v6, s0, v3, v0
	v_add_co_ci_u32_e64 v7, s0, v4, v1, s0
	;; [unrolled: 2-line block ×10, first 2 shown]
	s_clause 0xb
	global_load_dwordx2 v[8:9], v[0:1], off
	global_load_dwordx2 v[10:11], v[0:1], off offset:448
	global_load_dwordx2 v[12:13], v[0:1], off offset:896
	;; [unrolled: 1-line block ×9, first 2 shown]
	global_load_dwordx2 v[2:3], v[2:3], off
	global_load_dwordx2 v[16:17], v[16:17], off offset:1984
	v_add_co_u32 v0, s0, 0x2800, v0
	v_add_co_ci_u32_e64 v1, s0, 0, v1, s0
	s_clause 0xc
	global_load_dwordx2 v[36:37], v[18:19], off offset:1280
	global_load_dwordx2 v[18:19], v[18:19], off offset:1728
	;; [unrolled: 1-line block ×6, first 2 shown]
	global_load_dwordx2 v[4:5], v[4:5], off
	global_load_dwordx2 v[20:21], v[20:21], off offset:1920
	global_load_dwordx2 v[46:47], v[34:35], off offset:768
	;; [unrolled: 1-line block ×5, first 2 shown]
	global_load_dwordx2 v[6:7], v[6:7], off
	v_add_nc_u32_e32 v49, 0, v49
	v_add_nc_u32_e32 v55, 0x400, v49
	;; [unrolled: 1-line block ×8, first 2 shown]
	s_waitcnt vmcnt(23)
	ds_write2_b64 v49, v[8:9], v[10:11] offset1:56
	s_waitcnt vmcnt(21)
	ds_write2_b64 v49, v[12:13], v[14:15] offset0:112 offset1:168
	s_waitcnt vmcnt(19)
	ds_write2_b64 v55, v[22:23], v[24:25] offset0:96 offset1:152
	;; [unrolled: 2-line block ×4, first 2 shown]
	ds_write2_b64 v70, v[32:33], v[30:31] offset0:48 offset1:104
	s_waitcnt vmcnt(11)
	ds_write2_b64 v70, v[36:37], v[18:19] offset0:160 offset1:216
	s_waitcnt vmcnt(9)
	;; [unrolled: 2-line block ×7, first 2 shown]
	ds_write_b64 v49, v[6:7] offset:10752
.LBB0_13:
	s_or_b32 exec_lo, exec_lo, s1
	v_lshl_add_u32 v59, v48, 3, 0
	s_load_dwordx2 s[4:5], s[2:3], 0x0
	s_waitcnt lgkmcnt(0)
	s_barrier
	buffer_gl0_inv
	v_add_nc_u32_e32 v2, 0x1400, v59
	v_add_nc_u32_e32 v0, 0x1000, v59
	;; [unrolled: 1-line block ×4, first 2 shown]
	ds_read2_b64 v[3:6], v59 offset1:56
	ds_read2_b64 v[7:10], v0 offset0:160 offset1:188
	ds_read2_b64 v[11:14], v2 offset0:116 offset1:172
	;; [unrolled: 1-line block ×3, first 2 shown]
	v_add_nc_u32_e32 v31, 0x800, v59
	v_add_nc_u32_e32 v35, 0x2800, v59
	;; [unrolled: 1-line block ×4, first 2 shown]
	ds_read2_b64 v[19:22], v19 offset0:96 offset1:152
	ds_read2_b64 v[23:26], v23 offset0:84 offset1:140
	;; [unrolled: 1-line block ×9, first 2 shown]
	v_lshl_add_u32 v47, v48, 4, 0
	v_lshl_add_u32 v49, v54, 4, 0
	;; [unrolled: 1-line block ×3, first 2 shown]
	s_waitcnt lgkmcnt(0)
	s_barrier
	buffer_gl0_inv
	v_lshl_add_u32 v86, v62, 4, 0
	v_lshl_add_u32 v87, v58, 4, 0
	;; [unrolled: 1-line block ×5, first 2 shown]
	v_cmp_gt_u32_e64 s0, 28, v48
	v_sub_f32_e32 v9, v3, v9
	v_sub_f32_e32 v10, v4, v10
	;; [unrolled: 1-line block ×6, first 2 shown]
	v_fma_f32 v3, v3, 2.0, -v9
	v_fma_f32 v4, v4, 2.0, -v10
	;; [unrolled: 1-line block ×6, first 2 shown]
	ds_write2_b64 v47, v[3:4], v[9:10] offset1:1
	v_sub_f32_e32 v3, v17, v39
	v_sub_f32_e32 v4, v18, v40
	ds_write2_b64 v49, v[5:6], v[11:12] offset1:1
	ds_write2_b64 v55, v[15:16], v[13:14] offset1:1
	v_sub_f32_e32 v5, v19, v41
	v_sub_f32_e32 v6, v20, v42
	v_fma_f32 v9, v17, 2.0, -v3
	v_fma_f32 v10, v18, 2.0, -v4
	v_lshl_add_u32 v15, v66, 4, 0
	v_fma_f32 v11, v19, 2.0, -v5
	v_sub_f32_e32 v13, v21, v23
	v_sub_f32_e32 v14, v22, v24
	v_fma_f32 v12, v20, 2.0, -v6
	v_lshl_add_u32 v16, v65, 4, 0
	ds_write2_b64 v15, v[9:10], v[3:4] offset1:1
	v_fma_f32 v3, v21, 2.0, -v13
	v_fma_f32 v4, v22, 2.0, -v14
	v_lshl_add_u32 v10, v64, 4, 0
	ds_write2_b64 v16, v[11:12], v[5:6] offset1:1
	v_sub_f32_e32 v5, v27, v25
	v_sub_f32_e32 v6, v28, v26
	;; [unrolled: 1-line block ×3, first 2 shown]
	ds_write2_b64 v10, v[3:4], v[13:14] offset1:1
	v_sub_f32_e32 v13, v31, v45
	v_fma_f32 v3, v27, 2.0, -v5
	v_sub_f32_e32 v14, v32, v46
	v_sub_f32_e32 v26, v7, v37
	;; [unrolled: 1-line block ×8, first 2 shown]
	v_fma_f32 v4, v28, 2.0, -v6
	v_fma_f32 v11, v29, 2.0, -v9
	v_sub_f32_e32 v28, v74, v35
	v_sub_f32_e32 v29, v75, v36
	v_fma_f32 v17, v31, 2.0, -v13
	v_fma_f32 v18, v32, 2.0, -v14
	v_lshl_add_u32 v23, v63, 4, 0
	v_fma_f32 v24, v7, 2.0, -v26
	v_fma_f32 v25, v8, 2.0, -v27
	;; [unrolled: 1-line block ×9, first 2 shown]
	ds_write2_b64 v23, v[3:4], v[5:6] offset1:1
	ds_write2_b64 v86, v[11:12], v[9:10] offset1:1
	ds_write2_b64 v87, v[17:18], v[13:14] offset1:1
	ds_write2_b64 v85, v[19:20], v[15:16] offset1:1
	ds_write2_b64 v94, v[30:31], v[21:22] offset1:1
	ds_write2_b64 v96, v[32:33], v[28:29] offset1:1
	s_and_saveexec_b32 s1, s0
	s_cbranch_execz .LBB0_15
; %bb.14:
	v_lshl_add_u32 v3, v56, 4, 0
	ds_write2_b64 v3, v[24:25], v[26:27] offset1:1
.LBB0_15:
	s_or_b32 exec_lo, exec_lo, s1
	v_lshlrev_b32_e32 v88, 3, v62
	v_lshl_add_u32 v81, v65, 3, 0
	v_lshlrev_b32_e32 v95, 3, v58
	v_lshl_add_u32 v80, v64, 3, 0
	;; [unrolled: 2-line block ×3, first 2 shown]
	v_lshlrev_b32_e32 v99, 3, v60
	v_sub_nc_u32_e32 v3, v86, v88
	v_lshlrev_b32_e32 v101, 3, v57
	s_waitcnt lgkmcnt(0)
	s_barrier
	buffer_gl0_inv
	ds_read_b64 v[38:39], v81
	ds_read_b64 v[34:35], v80
	;; [unrolled: 1-line block ×4, first 2 shown]
	v_sub_nc_u32_e32 v3, v87, v95
	v_sub_nc_u32_e32 v4, v85, v97
	;; [unrolled: 1-line block ×4, first 2 shown]
	v_lshl_add_u32 v84, v54, 3, 0
	v_lshl_add_u32 v83, v67, 3, 0
	;; [unrolled: 1-line block ×3, first 2 shown]
	v_add_nc_u32_e32 v49, 0x2400, v59
	ds_read_b64 v[42:43], v3
	ds_read_b64 v[40:41], v4
	;; [unrolled: 1-line block ×8, first 2 shown]
	ds_read2_b64 v[20:23], v0 offset0:188 offset1:244
	ds_read2_b64 v[16:19], v1 offset0:44 offset1:100
	;; [unrolled: 1-line block ×6, first 2 shown]
	v_lshlrev_b32_e32 v93, 1, v48
	v_lshlrev_b32_e32 v92, 1, v54
	;; [unrolled: 1-line block ×12, first 2 shown]
	v_lshl_add_u32 v78, v56, 3, 0
	s_and_saveexec_b32 s1, s0
	s_cbranch_execz .LBB0_17
; %bb.16:
	ds_read_b64 v[24:25], v78
	ds_read_b64 v[26:27], v59 offset:10976
.LBB0_17:
	s_or_b32 exec_lo, exec_lo, s1
	v_and_b32_e32 v100, 1, v48
	v_sub_nc_u32_e32 v98, 0, v97
	v_sub_nc_u32_e32 v97, 0, v101
	;; [unrolled: 1-line block ×3, first 2 shown]
	v_lshlrev_b32_e32 v89, 3, v100
	v_and_or_b32 v101, 0x7c, v93, v100
	v_and_or_b32 v104, 0xfc, v92, v100
	;; [unrolled: 1-line block ×4, first 2 shown]
	global_load_dwordx2 v[102:103], v89, s[12:13]
	v_and_or_b32 v107, 0x3fc, v77, v100
	v_sub_nc_u32_e32 v89, 0, v88
	v_sub_nc_u32_e32 v88, 0, v95
	v_lshlrev_b32_e32 v95, 1, v56
	v_and_or_b32 v108, 0x2fc, v76, v100
	v_and_or_b32 v109, 0x3fc, v75, v100
	;; [unrolled: 1-line block ×7, first 2 shown]
	v_lshl_add_u32 v101, v101, 3, 0
	v_lshl_add_u32 v104, v104, 3, 0
	v_lshl_add_u32 v105, v105, 3, 0
	v_lshl_add_u32 v106, v106, 3, 0
	v_lshl_add_u32 v107, v107, 3, 0
	s_waitcnt vmcnt(0) lgkmcnt(0)
	s_barrier
	buffer_gl0_inv
	v_lshl_add_u32 v108, v108, 3, 0
	v_lshl_add_u32 v109, v109, 3, 0
	;; [unrolled: 1-line block ×7, first 2 shown]
	v_mul_f32_e32 v115, v103, v21
	v_mul_f32_e32 v116, v103, v20
	;; [unrolled: 1-line block ×26, first 2 shown]
	v_fmac_f32_e32 v115, v102, v20
	v_fma_f32 v20, v102, v21, -v116
	v_fmac_f32_e32 v117, v102, v22
	v_fmac_f32_e32 v139, v26, v102
	v_fma_f32 v27, v27, v102, -v103
	v_fma_f32 v21, v102, v23, -v118
	v_fmac_f32_e32 v119, v102, v16
	v_fma_f32 v16, v102, v17, -v120
	v_fmac_f32_e32 v121, v102, v18
	;; [unrolled: 2-line block ×10, first 2 shown]
	v_fma_f32 v23, v102, v3, -v138
	v_sub_f32_e32 v0, v70, v115
	v_sub_f32_e32 v1, v71, v20
	;; [unrolled: 1-line block ×26, first 2 shown]
	v_fma_f32 v70, v70, 2.0, -v0
	v_fma_f32 v71, v71, 2.0, -v1
	;; [unrolled: 1-line block ×26, first 2 shown]
	ds_write2_b64 v101, v[70:71], v[0:1] offset1:2
	ds_write2_b64 v104, v[68:69], v[2:3] offset1:2
	ds_write2_b64 v105, v[46:47], v[4:5] offset1:2
	ds_write2_b64 v106, v[44:45], v[6:7] offset1:2
	ds_write2_b64 v107, v[38:39], v[8:9] offset1:2
	ds_write2_b64 v108, v[34:35], v[10:11] offset1:2
	ds_write2_b64 v109, v[30:31], v[12:13] offset1:2
	ds_write2_b64 v110, v[28:29], v[14:15] offset1:2
	ds_write2_b64 v111, v[42:43], v[16:17] offset1:2
	ds_write2_b64 v112, v[40:41], v[18:19] offset1:2
	ds_write2_b64 v113, v[36:37], v[20:21] offset1:2
	ds_write2_b64 v114, v[32:33], v[22:23] offset1:2
	s_and_saveexec_b32 s1, s0
	s_cbranch_execz .LBB0_19
; %bb.18:
	v_and_or_b32 v0, 0x57c, v95, v100
	v_lshl_add_u32 v0, v0, 3, 0
	ds_write2_b64 v0, v[24:25], v[26:27] offset1:2
.LBB0_19:
	s_or_b32 exec_lo, exec_lo, s1
	v_add_nc_u32_e32 v0, 0x1000, v59
	v_add_nc_u32_e32 v16, 0x2000, v59
	;; [unrolled: 1-line block ×9, first 2 shown]
	s_waitcnt lgkmcnt(0)
	s_barrier
	buffer_gl0_inv
	ds_read2_b64 v[4:7], v0 offset0:188 offset1:244
	ds_read2_b64 v[0:3], v8 offset0:44 offset1:100
	ds_read_b64 v[36:37], v59
	ds_read_b64 v[32:33], v84
	ds_read_b64 v[30:31], v83
	ds_read_b64 v[28:29], v82
	ds_read2_b64 v[8:11], v8 offset0:156 offset1:212
	ds_read2_b64 v[12:15], v16 offset0:12 offset1:68
	ds_read_b64 v[42:43], v81
	ds_read_b64 v[40:41], v80
	ds_read_b64 v[38:39], v79
	ds_read_b64 v[34:35], v89
	;; [unrolled: 6-line block ×3, first 2 shown]
	s_and_saveexec_b32 s1, s0
	s_cbranch_execz .LBB0_21
; %bb.20:
	ds_read_b64 v[24:25], v78
	ds_read_b64 v[26:27], v59 offset:10976
.LBB0_21:
	s_or_b32 exec_lo, exec_lo, s1
	v_and_b32_e32 v94, 3, v48
	v_lshlrev_b32_e32 v96, 3, v94
	v_and_or_b32 v93, 0x78, v93, v94
	v_and_or_b32 v92, 0xf8, v92, v94
	;; [unrolled: 1-line block ×4, first 2 shown]
	global_load_dwordx2 v[96:97], v96, s[12:13] offset:16
	v_and_or_b32 v77, 0x3f8, v77, v94
	v_and_or_b32 v76, 0x2f8, v76, v94
	;; [unrolled: 1-line block ×8, first 2 shown]
	v_lshl_add_u32 v93, v93, 3, 0
	v_lshl_add_u32 v92, v92, 3, 0
	;; [unrolled: 1-line block ×5, first 2 shown]
	s_waitcnt vmcnt(0) lgkmcnt(0)
	s_barrier
	buffer_gl0_inv
	v_lshl_add_u32 v76, v76, 3, 0
	v_lshl_add_u32 v75, v75, 3, 0
	;; [unrolled: 1-line block ×7, first 2 shown]
	v_mul_f32_e32 v98, v97, v5
	v_mul_f32_e32 v99, v97, v4
	;; [unrolled: 1-line block ×26, first 2 shown]
	v_fmac_f32_e32 v98, v96, v4
	v_fma_f32 v4, v96, v5, -v99
	v_fmac_f32_e32 v100, v96, v6
	v_fma_f32 v5, v96, v7, -v101
	;; [unrolled: 2-line block ×13, first 2 shown]
	v_sub_f32_e32 v0, v36, v98
	v_sub_f32_e32 v1, v37, v4
	;; [unrolled: 1-line block ×26, first 2 shown]
	v_fma_f32 v36, v36, 2.0, -v0
	v_fma_f32 v37, v37, 2.0, -v1
	;; [unrolled: 1-line block ×24, first 2 shown]
	ds_write2_b64 v93, v[36:37], v[0:1] offset1:4
	ds_write2_b64 v92, v[32:33], v[4:5] offset1:4
	;; [unrolled: 1-line block ×12, first 2 shown]
	s_and_saveexec_b32 s1, s0
	s_cbranch_execz .LBB0_23
; %bb.22:
	v_and_or_b32 v0, 0x578, v95, v94
	v_fma_f32 v1, v25, 2.0, -v3
	v_lshl_add_u32 v4, v0, 3, 0
	v_fma_f32 v0, v24, 2.0, -v2
	ds_write2_b64 v4, v[0:1], v[2:3] offset1:4
.LBB0_23:
	s_or_b32 exec_lo, exec_lo, s1
	v_and_b32_e32 v16, 7, v48
	s_waitcnt lgkmcnt(0)
	s_barrier
	buffer_gl0_inv
	v_add_nc_u32_e32 v49, 0x1800, v59
	v_lshlrev_b32_e32 v0, 5, v16
	v_add_nc_u32_e32 v32, 0x2000, v59
	v_add_nc_u32_e32 v34, 0x800, v59
	;; [unrolled: 1-line block ×4, first 2 shown]
	s_clause 0x1
	global_load_dwordx4 v[37:40], v0, s[12:13] offset:48
	global_load_dwordx4 v[41:44], v0, s[12:13] offset:64
	ds_read_b64 v[19:20], v80
	ds_read_b64 v[22:23], v86
	v_add_nc_u32_e32 v0, 0x1400, v59
	ds_read2_b64 v[68:71], v49 offset0:72 offset1:128
	ds_read2_b64 v[72:75], v32 offset0:40 offset1:96
	;; [unrolled: 1-line block ×4, first 2 shown]
	ds_read_b64 v[14:15], v59
	ds_read_b64 v[12:13], v84
	;; [unrolled: 1-line block ×4, first 2 shown]
	ds_read2_b64 v[98:101], v32 offset0:152 offset1:208
	ds_read_b64 v[6:7], v81
	ds_read2_b64 v[102:105], v49 offset0:184 offset1:240
	ds_read2_b64 v[106:109], v34 offset0:192 offset1:248
	;; [unrolled: 1-line block ×4, first 2 shown]
	s_waitcnt vmcnt(0) lgkmcnt(0)
	s_barrier
	buffer_gl0_inv
	v_cmp_gt_u32_e64 s1, 32, v48
	v_mul_f32_e32 v45, v38, v20
	v_mul_f32_e32 v30, v38, v19
	;; [unrolled: 1-line block ×25, first 2 shown]
	v_fmac_f32_e32 v45, v37, v19
	v_mul_f32_e32 v121, v96, v40
	v_mul_f32_e32 v122, v102, v42
	;; [unrolled: 1-line block ×13, first 2 shown]
	v_fma_f32 v131, v37, v20, -v30
	v_fmac_f32_e32 v46, v39, v22
	v_fma_f32 v132, v39, v23, -v31
	v_fmac_f32_e32 v4, v68, v41
	;; [unrolled: 2-line block ×4, first 2 shown]
	v_fma_f32 v55, v91, v37, -v55
	v_fma_f32 v69, v95, v39, -v76
	;; [unrolled: 1-line block ×4, first 2 shown]
	v_fmac_f32_e32 v119, v92, v37
	v_fmac_f32_e32 v0, v96, v39
	;; [unrolled: 1-line block ×5, first 2 shown]
	v_fma_f32 v74, v107, v37, -v125
	v_fmac_f32_e32 v130, v108, v37
	v_fmac_f32_e32 v1, v94, v39
	;; [unrolled: 1-line block ×4, first 2 shown]
	v_fma_f32 v70, v93, v37, -v120
	v_fma_f32 v19, v109, v37, -v38
	v_add_f32_e32 v37, v14, v45
	v_mul_f32_e32 v26, v117, v44
	v_mul_f32_e32 v44, v116, v44
	v_fma_f32 v71, v97, v39, -v121
	v_fma_f32 v77, v103, v41, -v122
	;; [unrolled: 1-line block ×3, first 2 shown]
	v_fmac_f32_e32 v126, v110, v39
	v_fma_f32 v76, v111, v39, -v127
	v_fmac_f32_e32 v29, v104, v41
	v_fma_f32 v91, v105, v41, -v128
	;; [unrolled: 2-line block ×5, first 2 shown]
	v_add_f32_e32 v38, v46, v4
	v_sub_f32_e32 v39, v45, v46
	v_sub_f32_e32 v40, v18, v4
	v_add_f32_e32 v41, v45, v18
	v_sub_f32_e32 v42, v46, v45
	v_add_f32_e32 v72, v132, v68
	v_sub_f32_e32 v97, v45, v18
	v_sub_f32_e32 v45, v131, v132
	;; [unrolled: 1-line block ×3, first 2 shown]
	v_add_f32_e32 v90, v131, v36
	v_add_f32_e32 v94, v12, v47
	;; [unrolled: 1-line block ×11, first 2 shown]
	v_sub_f32_e32 v98, v46, v4
	v_sub_f32_e32 v102, v47, v1
	;; [unrolled: 1-line block ×3, first 2 shown]
	v_add_f32_e32 v125, v11, v70
	v_add_f32_e32 v46, v37, v46
	v_fmac_f32_e32 v26, v116, v43
	v_fma_f32 v23, v117, v43, -v44
	v_sub_f32_e32 v95, v131, v36
	v_add_f32_e32 v44, v15, v131
	v_sub_f32_e32 v92, v132, v131
	v_add_f32_e32 v99, v1, v27
	v_sub_f32_e32 v100, v55, v35
	v_sub_f32_e32 v101, v69, v75
	;; [unrolled: 1-line block ×9, first 2 shown]
	v_add_f32_e32 v150, v39, v40
	v_fma_f32 v37, -0.5, v38, v14
	v_fma_f32 v14, -0.5, v41, v14
	v_fma_f32 v38, -0.5, v72, v15
	v_add_f32_e32 v156, v45, v73
	v_fmac_f32_e32 v15, -0.5, v90
	v_add_f32_e32 v73, v94, v1
	v_add_f32_e32 v69, v107, v69
	v_fma_f32 v40, -0.5, v108, v13
	v_fmac_f32_e32 v13, -0.5, v112
	v_add_f32_e32 v94, v114, v0
	v_fma_f32 v41, -0.5, v115, v10
	v_fma_f32 v10, -0.5, v121, v10
	v_add_f32_e32 v112, v135, v126
	v_add_f32_e32 v115, v144, v76
	;; [unrolled: 1-line block ×3, first 2 shown]
	v_sub_f32_e32 v93, v68, v36
	v_add_f32_e32 v102, v102, v103
	v_add_f32_e32 v103, v7, v19
	;; [unrolled: 1-line block ×4, first 2 shown]
	v_sub_f32_e32 v43, v4, v18
	v_add_f32_e32 v104, v47, v21
	v_sub_f32_e32 v116, v70, v31
	v_sub_f32_e32 v117, v71, v77
	;; [unrolled: 1-line block ×4, first 2 shown]
	v_add_f32_e32 v127, v71, v77
	v_add_f32_e32 v133, v70, v31
	v_sub_f32_e32 v70, v71, v70
	v_add_f32_e32 v136, v126, v29
	v_sub_f32_e32 v140, v25, v29
	v_sub_f32_e32 v143, v29, v25
	;; [unrolled: 1-line block ×5, first 2 shown]
	v_fma_f32 v39, -0.5, v99, v12
	v_add_f32_e32 v99, v105, v106
	v_add_f32_e32 v105, v110, v111
	;; [unrolled: 1-line block ×3, first 2 shown]
	v_fmamk_f32 v71, v98, 0xbf737871, v15
	v_fmac_f32_e32 v15, 0x3f737871, v98
	v_add_f32_e32 v69, v69, v75
	v_add_f32_e32 v129, v94, v28
	;; [unrolled: 1-line block ×5, first 2 shown]
	v_sub_f32_e32 v109, v1, v27
	v_add_f32_e32 v154, v5, v17
	v_add_f32_e32 v158, v92, v93
	;; [unrolled: 1-line block ×6, first 2 shown]
	v_sub_f32_e32 v96, v132, v68
	v_sub_f32_e32 v113, v75, v35
	;; [unrolled: 1-line block ×6, first 2 shown]
	v_add_f32_e32 v152, v42, v43
	v_fma_f32 v12, -0.5, v104, v12
	v_sub_f32_e32 v92, v17, v26
	v_sub_f32_e32 v104, v130, v26
	v_add_f32_e32 v107, v122, v123
	v_fma_f32 v42, -0.5, v127, v11
	v_add_f32_e32 v122, v45, v72
	v_fmamk_f32 v45, v95, 0xbf737871, v37
	v_fmac_f32_e32 v37, 0x3f737871, v95
	v_fmamk_f32 v46, v97, 0x3f737871, v38
	v_fmac_f32_e32 v38, 0xbf737871, v97
	v_add_f32_e32 v127, v73, v27
	v_fmac_f32_e32 v71, 0x3f167918, v97
	v_fmac_f32_e32 v15, 0xbf167918, v97
	v_add_f32_e32 v97, v69, v35
	v_add_f32_e32 v35, v129, v24
	;; [unrolled: 1-line block ×5, first 2 shown]
	v_sub_f32_e32 v128, v0, v28
	v_fma_f32 v0, -0.5, v154, v6
	v_fma_f32 v6, -0.5, v1, v6
	;; [unrolled: 1-line block ×3, first 2 shown]
	v_add_f32_e32 v18, v18, v22
	v_sub_f32_e32 v47, v47, v21
	v_sub_f32_e32 v90, v5, v130
	v_add_f32_e32 v111, v70, v134
	v_fmamk_f32 v70, v96, 0x3f737871, v14
	v_fmac_f32_e32 v14, 0xbf737871, v96
	v_fmac_f32_e32 v45, 0xbf167918, v96
	v_fmac_f32_e32 v37, 0x3f167918, v96
	v_add_f32_e32 v96, v127, v21
	v_sub_f32_e32 v17, v5, v17
	v_sub_f32_e32 v5, v19, v20
	;; [unrolled: 1-line block ×3, first 2 shown]
	v_fmac_f32_e32 v7, -0.5, v26
	v_sub_f32_e32 v137, v74, v30
	v_sub_f32_e32 v139, v124, v126
	v_add_f32_e32 v141, v124, v25
	v_sub_f32_e32 v142, v126, v124
	v_sub_f32_e32 v124, v124, v25
	;; [unrolled: 1-line block ×3, first 2 shown]
	v_add_f32_e32 v149, v74, v30
	v_sub_f32_e32 v151, v91, v30
	v_sub_f32_e32 v155, v19, v23
	v_add_f32_e32 v25, v112, v30
	v_fmamk_f32 v69, v104, 0x3f737871, v1
	v_add_f32_e32 v30, v18, v23
	v_fmac_f32_e32 v1, 0xbf737871, v104
	v_sub_f32_e32 v18, v20, v19
	v_sub_f32_e32 v19, v22, v23
	v_add_f32_e32 v21, v5, v21
	v_fmamk_f32 v5, v17, 0xbf737871, v7
	v_fmac_f32_e32 v7, 0x3f737871, v17
	v_fmac_f32_e32 v69, 0x3f167918, v17
	;; [unrolled: 1-line block ×3, first 2 shown]
	v_add_f32_e32 v17, v18, v19
	v_lshrrev_b32_e32 v19, 3, v54
	v_sub_f32_e32 v157, v20, v22
	v_lshrrev_b32_e32 v20, 3, v48
	v_fmac_f32_e32 v5, 0x3f167918, v104
	v_fmac_f32_e32 v7, 0xbf167918, v104
	v_sub_f32_e32 v147, v74, v76
	v_sub_f32_e32 v74, v76, v74
	v_mul_lo_u32 v19, v19, 40
	v_add_f32_e32 v145, v76, v91
	v_add_f32_e32 v132, v44, v132
	v_mul_u32_u24_e32 v18, 40, v20
	v_fmac_f32_e32 v5, 0x3e9e377a, v17
	v_fmac_f32_e32 v7, 0x3e9e377a, v17
	v_lshrrev_b32_e32 v17, 3, v67
	v_fmamk_f32 v72, v100, 0xbf737871, v39
	v_fmamk_f32 v73, v47, 0x3f737871, v40
	v_lshrrev_b32_e32 v20, 3, v66
	v_add_f32_e32 v106, v118, v120
	v_add_f32_e32 v120, v74, v151
	v_fmamk_f32 v74, v101, 0x3f737871, v12
	v_fmac_f32_e32 v12, 0xbf737871, v101
	v_fmamk_f32 v75, v109, 0xbf737871, v13
	v_fmac_f32_e32 v13, 0x3f737871, v109
	v_fmac_f32_e32 v11, -0.5, v133
	v_fma_f32 v43, -0.5, v136, v8
	v_fma_f32 v44, -0.5, v145, v9
	v_add_f32_e32 v126, v132, v68
	v_fmac_f32_e32 v70, 0xbf167918, v95
	v_fmac_f32_e32 v14, 0x3f167918, v95
	;; [unrolled: 1-line block ×5, first 2 shown]
	v_or_b32_e32 v18, v18, v16
	v_mul_lo_u32 v17, v17, 40
	v_lshrrev_b32_e32 v21, 3, v65
	v_sub_f32_e32 v138, v76, v91
	v_fma_f32 v8, -0.5, v141, v8
	v_fmac_f32_e32 v9, -0.5, v149
	v_fmac_f32_e32 v38, 0xbf167918, v98
	v_fmac_f32_e32 v72, 0xbf167918, v101
	;; [unrolled: 1-line block ×3, first 2 shown]
	v_or_b32_e32 v19, v19, v16
	v_mul_lo_u32 v20, v20, 40
	v_add_f32_e32 v55, v55, v113
	v_fmac_f32_e32 v39, 0x3f737871, v100
	v_fmac_f32_e32 v40, 0xbf737871, v47
	v_fmamk_f32 v27, v116, 0xbf737871, v41
	v_fmamk_f32 v28, v119, 0x3f737871, v42
	v_fmac_f32_e32 v74, 0xbf167918, v100
	v_fmac_f32_e32 v12, 0x3f167918, v100
	;; [unrolled: 1-line block ×5, first 2 shown]
	v_fmamk_f32 v76, v117, 0x3f737871, v10
	v_fmac_f32_e32 v10, 0xbf737871, v117
	v_add_f32_e32 v108, v108, v77
	v_fmac_f32_e32 v42, 0xbf737871, v119
	v_fmamk_f32 v77, v128, 0xbf737871, v11
	v_fmac_f32_e32 v11, 0x3f737871, v128
	v_add_f32_e32 v123, v90, v92
	v_fmamk_f32 v90, v137, 0xbf737871, v43
	v_fmamk_f32 v91, v124, 0x3f737871, v44
	v_add_f32_e32 v95, v126, v36
	v_fmac_f32_e32 v45, 0x3e9e377a, v150
	v_fmac_f32_e32 v70, 0x3e9e377a, v152
	;; [unrolled: 1-line block ×6, first 2 shown]
	v_lshl_add_u32 v18, v18, 3, 0
	v_mul_lo_u32 v21, v21, 40
	v_fmamk_f32 v92, v138, 0x3f737871, v8
	v_fmac_f32_e32 v8, 0xbf737871, v138
	v_fmamk_f32 v93, v146, 0xbf737871, v9
	v_fmac_f32_e32 v9, 0x3f737871, v146
	v_fmac_f32_e32 v37, 0x3e9e377a, v150
	;; [unrolled: 1-line block ×7, first 2 shown]
	v_lshl_add_u32 v19, v19, 3, 0
	v_fmamk_f32 v68, v155, 0xbf737871, v0
	v_fmac_f32_e32 v39, 0x3f167918, v101
	v_fmac_f32_e32 v40, 0xbf167918, v109
	;; [unrolled: 1-line block ×8, first 2 shown]
	v_or_b32_e32 v17, v17, v16
	v_fmac_f32_e32 v0, 0x3f737871, v155
	v_fmamk_f32 v4, v157, 0x3f737871, v6
	v_fmac_f32_e32 v41, 0x3f167918, v117
	v_fmac_f32_e32 v76, 0xbf167918, v116
	;; [unrolled: 1-line block ×7, first 2 shown]
	v_add_f32_e32 v113, v139, v140
	v_add_f32_e32 v118, v147, v148
	v_fmac_f32_e32 v90, 0xbf167918, v138
	v_fmac_f32_e32 v91, 0x3f167918, v146
	ds_write2_b64 v18, v[94:95], v[45:46] offset1:8
	ds_write2_b64 v18, v[70:71], v[14:15] offset0:16 offset1:24
	ds_write_b64 v18, v[37:38] offset:256
	ds_write2_b64 v19, v[96:97], v[72:73] offset1:8
	v_or_b32_e32 v14, v20, v16
	v_add_f32_e32 v114, v142, v143
	v_fmac_f32_e32 v92, 0xbf167918, v137
	v_fmac_f32_e32 v8, 0x3f167918, v137
	;; [unrolled: 1-line block ×6, first 2 shown]
	v_add_f32_e32 v36, v108, v31
	v_fmac_f32_e32 v68, 0xbf167918, v157
	v_fmac_f32_e32 v39, 0x3e9e377a, v102
	;; [unrolled: 1-line block ×5, first 2 shown]
	v_lshl_add_u32 v15, v17, 3, 0
	ds_write2_b64 v19, v[74:75], v[12:13] offset0:16 offset1:24
	v_or_b32_e32 v12, v21, v16
	v_fmac_f32_e32 v0, 0x3f167918, v157
	v_fmac_f32_e32 v4, 0xbf167918, v155
	;; [unrolled: 1-line block ×11, first 2 shown]
	v_lshl_add_u32 v13, v14, 3, 0
	v_fmac_f32_e32 v92, 0x3e9e377a, v114
	v_fmac_f32_e32 v8, 0x3e9e377a, v114
	;; [unrolled: 1-line block ×7, first 2 shown]
	ds_write_b64 v19, v[39:40] offset:256
	ds_write2_b64 v15, v[35:36], v[27:28] offset1:8
	ds_write2_b64 v15, v[76:77], v[10:11] offset0:16 offset1:24
	v_lshl_add_u32 v10, v12, 3, 0
	v_fmac_f32_e32 v0, 0x3e9e377a, v122
	v_fmac_f32_e32 v4, 0x3e9e377a, v123
	;; [unrolled: 1-line block ×3, first 2 shown]
	ds_write_b64 v15, v[41:42] offset:256
	ds_write2_b64 v13, v[24:25], v[90:91] offset1:8
	ds_write2_b64 v13, v[92:93], v[8:9] offset0:16 offset1:24
	ds_write_b64 v13, v[43:44] offset:256
	ds_write2_b64 v10, v[29:30], v[68:69] offset1:8
	ds_write2_b64 v10, v[4:5], v[6:7] offset0:16 offset1:24
	ds_write_b64 v10, v[0:1] offset:256
	s_waitcnt lgkmcnt(0)
	s_barrier
	buffer_gl0_inv
	ds_read2_b64 v[12:15], v59 offset1:200
	ds_read2_b64 v[24:27], v34 offset0:144 offset1:200
	ds_read2_b64 v[16:19], v33 offset1:88
	ds_read2_b64 v[28:31], v49 offset0:32 offset1:88
	ds_read2_b64 v[20:23], v49 offset0:144 offset1:232
	;; [unrolled: 1-line block ×3, first 2 shown]
	ds_read2_b64 v[44:47], v34 offset1:56
	ds_read2_b64 v[40:43], v33 offset0:144 offset1:200
	ds_read2_b64 v[32:35], v32 offset0:32 offset1:88
	ds_read_b64 v[72:73], v83
	ds_read_b64 v[74:75], v84
	ds_read_b64 v[76:77], v59 offset:10496
                                        ; implicit-def: $vgpr11
	s_and_saveexec_b32 s2, s1
	s_cbranch_execz .LBB0_25
; %bb.24:
	v_add_nc_u32_e32 v4, 0xa00, v59
	v_add_nc_u32_e32 v8, 0x2400, v59
	ds_read_b64 v[68:69], v82
	ds_read2_b64 v[0:3], v49 offset1:200
	ds_read2_b64 v[4:7], v4 offset0:48 offset1:248
	ds_read2_b64 v[8:11], v8 offset0:16 offset1:216
.LBB0_25:
	s_or_b32 exec_lo, exec_lo, s2
	v_subrev_nc_u32_e32 v49, 40, v48
	v_cmp_gt_u32_e64 s2, 40, v48
	v_mov_b32_e32 v71, 0
	v_and_b32_e32 v55, 0xff, v54
	v_mov_b32_e32 v106, 6
	v_mov_b32_e32 v128, 0x8c0
	v_cndmask_b32_e64 v49, v49, v48, s2
	v_mov_b32_e32 v129, 3
	v_mul_lo_u16 v55, 0xcd, v55
	v_mul_i32_i24_e32 v70, 6, v49
	v_lshlrev_b32_e32 v49, 3, v49
	v_lshrrev_b16 v55, 13, v55
	v_lshlrev_b64 v[90:91], 3, v[70:71]
	v_and_b32_e32 v70, 0xff, v67
	v_mul_lo_u16 v102, v55, 40
	v_mul_u32_u24_sdwa v55, v55, v128 dst_sel:DWORD dst_unused:UNUSED_PAD src0_sel:WORD_0 src1_sel:DWORD
	v_mul_lo_u16 v70, 0xcd, v70
	v_sub_nc_u16 v126, v54, v102
	v_add_co_u32 v98, s2, s12, v90
	v_add_co_ci_u32_e64 v99, s2, s13, v91, s2
	v_lshrrev_b16 v70, 13, v70
	v_mul_u32_u24_sdwa v102, v126, v106 dst_sel:DWORD dst_unused:UNUSED_PAD src0_sel:BYTE_0 src1_sel:DWORD
	v_cmp_lt_u32_e64 s2, 39, v48
	s_clause 0x1
	global_load_dwordx4 v[90:93], v[98:99], off offset:304
	global_load_dwordx4 v[94:97], v[98:99], off offset:320
	v_mul_lo_u16 v103, v70, 40
	global_load_dwordx4 v[98:101], v[98:99], off offset:336
	v_lshlrev_b32_e32 v110, 3, v102
	v_cndmask_b32_e64 v130, 0, 0x8c0, s2
	v_mul_u32_u24_sdwa v70, v70, v128 dst_sel:DWORD dst_unused:UNUSED_PAD src0_sel:WORD_0 src1_sel:DWORD
	v_sub_nc_u16 v127, v67, v103
	v_lshlrev_b32_sdwa v126, v129, v126 dst_sel:DWORD dst_unused:UNUSED_PAD src0_sel:DWORD src1_sel:BYTE_0
	global_load_dwordx4 v[102:105], v110, s[12:13] offset:304
	v_add3_u32 v49, 0, v130, v49
	v_mul_u32_u24_sdwa v111, v127, v106 dst_sel:DWORD dst_unused:UNUSED_PAD src0_sel:BYTE_0 src1_sel:DWORD
	global_load_dwordx4 v[106:109], v110, s[12:13] offset:320
	v_lshlrev_b32_sdwa v127, v129, v127 dst_sel:DWORD dst_unused:UNUSED_PAD src0_sel:DWORD src1_sel:BYTE_0
	v_add3_u32 v55, 0, v55, v126
	v_lshlrev_b32_e32 v122, 3, v111
	s_clause 0x3
	global_load_dwordx4 v[110:113], v110, s[12:13] offset:336
	global_load_dwordx4 v[114:117], v122, s[12:13] offset:304
	;; [unrolled: 1-line block ×4, first 2 shown]
	v_add3_u32 v70, 0, v70, v127
	s_waitcnt vmcnt(0) lgkmcnt(0)
	s_barrier
	buffer_gl0_inv
	v_mul_f32_e32 v126, v91, v15
	v_mul_f32_e32 v91, v91, v14
	;; [unrolled: 1-line block ×12, first 2 shown]
	v_fmac_f32_e32 v126, v90, v14
	v_fma_f32 v14, v90, v15, -v91
	v_fmac_f32_e32 v127, v92, v24
	v_fma_f32 v15, v92, v25, -v93
	;; [unrolled: 2-line block ×6, first 2 shown]
	v_mul_f32_e32 v24, v103, v45
	v_mul_f32_e32 v25, v103, v44
	;; [unrolled: 1-line block ×24, first 2 shown]
	v_add_f32_e32 v115, v126, v131
	v_add_f32_e32 v117, v14, v23
	v_sub_f32_e32 v119, v126, v131
	v_sub_f32_e32 v14, v14, v23
	v_add_f32_e32 v23, v127, v130
	v_add_f32_e32 v121, v15, v22
	v_sub_f32_e32 v123, v127, v130
	v_sub_f32_e32 v15, v15, v22
	;; [unrolled: 4-line block ×3, first 2 shown]
	v_fmac_f32_e32 v24, v102, v44
	v_fma_f32 v19, v102, v45, -v25
	v_fmac_f32_e32 v28, v104, v26
	v_fma_f32 v25, v104, v27, -v29
	v_fmac_f32_e32 v90, v30, v108
	v_fmac_f32_e32 v92, v32, v110
	v_fma_f32 v29, v33, v110, -v93
	v_fmac_f32_e32 v94, v38, v112
	v_fma_f32 v30, v39, v112, -v95
	;; [unrolled: 2-line block ×3, first 2 shown]
	v_fma_f32 v27, v31, v108, -v91
	v_fmac_f32_e32 v96, v46, v114
	v_fma_f32 v31, v47, v114, -v97
	v_fmac_f32_e32 v98, v16, v116
	v_fma_f32 v16, v17, v116, -v99
	v_fmac_f32_e32 v103, v20, v120
	v_fma_f32 v20, v21, v120, -v105
	v_fmac_f32_e32 v107, v34, v122
	v_fma_f32 v21, v35, v122, -v109
	v_fmac_f32_e32 v111, v76, v124
	v_fma_f32 v32, v77, v124, -v113
	v_fmac_f32_e32 v100, v42, v118
	v_fma_f32 v17, v43, v118, -v101
	v_add_f32_e32 v33, v23, v115
	v_add_f32_e32 v34, v121, v117
	v_sub_f32_e32 v35, v23, v115
	v_sub_f32_e32 v38, v115, v22
	;; [unrolled: 1-line block ×5, first 2 shown]
	v_add_f32_e32 v41, v126, v123
	v_add_f32_e32 v42, v18, v15
	v_sub_f32_e32 v43, v126, v123
	v_sub_f32_e32 v44, v18, v15
	;; [unrolled: 1-line block ×4, first 2 shown]
	v_add_f32_e32 v47, v24, v94
	v_add_f32_e32 v76, v19, v30
	v_sub_f32_e32 v19, v19, v30
	v_add_f32_e32 v30, v28, v92
	v_add_f32_e32 v77, v25, v29
	v_sub_f32_e32 v25, v25, v29
	;; [unrolled: 3-line block ×3, first 2 shown]
	v_sub_f32_e32 v26, v27, v26
	v_add_f32_e32 v27, v96, v111
	v_add_f32_e32 v90, v31, v32
	v_sub_f32_e32 v31, v31, v32
	v_add_f32_e32 v32, v98, v107
	v_add_f32_e32 v93, v16, v21
	v_sub_f32_e32 v37, v121, v117
	v_sub_f32_e32 v45, v119, v126
	;; [unrolled: 1-line block ×8, first 2 shown]
	v_add_f32_e32 v21, v100, v103
	v_add_f32_e32 v95, v17, v20
	v_sub_f32_e32 v96, v103, v100
	v_sub_f32_e32 v17, v20, v17
	v_add_f32_e32 v20, v22, v33
	v_add_f32_e32 v22, v125, v34
	;; [unrolled: 1-line block ×4, first 2 shown]
	v_mul_f32_e32 v34, 0x3f4a47b2, v38
	v_mul_f32_e32 v38, 0x3f4a47b2, v39
	;; [unrolled: 1-line block ×8, first 2 shown]
	v_add_f32_e32 v98, v30, v47
	v_add_f32_e32 v99, v77, v76
	v_sub_f32_e32 v100, v30, v47
	v_sub_f32_e32 v101, v77, v76
	;; [unrolled: 1-line block ×4, first 2 shown]
	v_add_f32_e32 v106, v32, v27
	v_add_f32_e32 v107, v93, v90
	v_sub_f32_e32 v30, v29, v30
	v_sub_f32_e32 v77, v91, v77
	v_add_f32_e32 v102, v36, v28
	v_add_f32_e32 v103, v26, v25
	v_sub_f32_e32 v104, v36, v28
	v_sub_f32_e32 v105, v26, v25
	;; [unrolled: 1-line block ×13, first 2 shown]
	v_add_f32_e32 v12, v12, v20
	v_add_f32_e32 v13, v13, v22
	v_fmamk_f32 v23, v23, 0x3d64c772, v34
	v_fmamk_f32 v40, v40, 0x3d64c772, v38
	v_fma_f32 v39, 0x3f3bfb3b, v35, -v39
	v_fma_f32 v41, 0x3f3bfb3b, v37, -v41
	v_fma_f32 v34, 0xbf3bfb3b, v35, -v34
	v_fma_f32 v35, 0xbf3bfb3b, v37, -v38
	v_fmamk_f32 v37, v45, 0xbeae86e6, v42
	v_fmamk_f32 v38, v18, 0xbeae86e6, v43
	v_fma_f32 v43, 0xbf5ff5aa, v15, -v43
	v_fma_f32 v44, 0x3eae86e6, v45, -v44
	;; [unrolled: 1-line block ×3, first 2 shown]
	v_add_f32_e32 v18, v29, v98
	v_add_f32_e32 v29, v91, v99
	;; [unrolled: 1-line block ×3, first 2 shown]
	v_sub_f32_e32 v114, v31, v17
	v_fma_f32 v42, 0xbf5ff5aa, v46, -v42
	v_mul_f32_e32 v16, 0x3f4a47b2, v47
	v_mul_f32_e32 v17, 0x3f4a47b2, v76
	v_add_f32_e32 v21, v21, v106
	v_add_f32_e32 v95, v95, v107
	v_sub_f32_e32 v36, v24, v36
	v_sub_f32_e32 v26, v19, v26
	v_add_f32_e32 v110, v96, v94
	v_sub_f32_e32 v96, v92, v96
	v_sub_f32_e32 v94, v94, v92
	v_add_f32_e32 v24, v102, v24
	v_add_f32_e32 v19, v103, v19
	v_mul_f32_e32 v46, 0x3d64c772, v30
	v_mul_f32_e32 v47, 0x3d64c772, v77
	;; [unrolled: 1-line block ×13, first 2 shown]
	v_fmamk_f32 v20, v20, 0xbf955555, v12
	v_fmamk_f32 v22, v22, 0xbf955555, v13
	v_fmac_f32_e32 v38, 0xbee1c552, v14
	v_fmac_f32_e32 v43, 0xbee1c552, v14
	;; [unrolled: 1-line block ×3, first 2 shown]
	v_add_f32_e32 v14, v74, v18
	v_add_f32_e32 v15, v75, v29
	v_fmac_f32_e32 v37, 0xbee1c552, v33
	v_fmac_f32_e32 v42, 0xbee1c552, v33
	;; [unrolled: 1-line block ×3, first 2 shown]
	v_fmamk_f32 v30, v30, 0x3d64c772, v16
	v_fmamk_f32 v33, v77, 0x3d64c772, v17
	v_fma_f32 v74, 0xbf3bfb3b, v100, -v16
	v_fma_f32 v75, 0xbf3bfb3b, v101, -v17
	v_add_f32_e32 v16, v72, v21
	v_add_f32_e32 v17, v73, v95
	v_add_f32_e32 v31, v111, v31
	v_mul_f32_e32 v105, 0xbf5ff5aa, v94
	v_fma_f32 v46, 0x3f3bfb3b, v100, -v46
	v_fma_f32 v47, 0x3f3bfb3b, v101, -v47
	v_fmamk_f32 v77, v36, 0xbeae86e6, v76
	v_fmamk_f32 v100, v26, 0xbeae86e6, v91
	v_fma_f32 v76, 0xbf5ff5aa, v28, -v76
	v_fma_f32 v91, 0xbf5ff5aa, v25, -v91
	;; [unrolled: 1-line block ×4, first 2 shown]
	v_fmamk_f32 v32, v32, 0x3d64c772, v27
	v_fmamk_f32 v72, v93, 0x3d64c772, v90
	v_fma_f32 v73, 0x3f3bfb3b, v108, -v99
	v_fma_f32 v93, 0x3f3bfb3b, v109, -v102
	;; [unrolled: 1-line block ×3, first 2 shown]
	v_fmamk_f32 v99, v96, 0xbeae86e6, v103
	v_fmamk_f32 v101, v114, 0xbeae86e6, v104
	v_fma_f32 v94, 0xbf5ff5aa, v94, -v103
	v_fma_f32 v102, 0xbf5ff5aa, v115, -v104
	;; [unrolled: 1-line block ×3, first 2 shown]
	v_add_f32_e32 v28, v23, v20
	v_add_f32_e32 v40, v40, v22
	;; [unrolled: 1-line block ×5, first 2 shown]
	v_fmamk_f32 v35, v18, 0xbf955555, v14
	v_fmamk_f32 v39, v29, 0xbf955555, v15
	v_add_f32_e32 v26, v41, v22
	v_add_f32_e32 v92, v110, v92
	v_fmamk_f32 v41, v21, 0xbf955555, v16
	v_fmamk_f32 v95, v95, 0xbf955555, v17
	v_fma_f32 v90, 0xbf3bfb3b, v109, -v90
	v_fma_f32 v96, 0x3eae86e6, v96, -v105
	v_fmac_f32_e32 v77, 0xbee1c552, v24
	v_fmac_f32_e32 v100, 0xbee1c552, v19
	;; [unrolled: 1-line block ×7, first 2 shown]
	v_add_f32_e32 v18, v38, v28
	v_sub_f32_e32 v19, v40, v37
	v_add_f32_e32 v30, v30, v35
	v_add_f32_e32 v31, v33, v39
	v_fmac_f32_e32 v76, 0xbee1c552, v24
	v_fmac_f32_e32 v36, 0xbee1c552, v24
	v_add_f32_e32 v20, v45, v27
	v_sub_f32_e32 v21, v34, v44
	v_sub_f32_e32 v22, v25, v43
	v_add_f32_e32 v23, v42, v26
	v_add_f32_e32 v24, v43, v25
	v_sub_f32_e32 v25, v26, v42
	v_sub_f32_e32 v26, v27, v45
	v_add_f32_e32 v27, v44, v34
	v_add_f32_e32 v29, v37, v40
	;; [unrolled: 1-line block ×6, first 2 shown]
	v_sub_f32_e32 v28, v28, v38
	v_fmac_f32_e32 v99, 0xbee1c552, v92
	v_add_f32_e32 v38, v32, v41
	v_add_f32_e32 v39, v72, v95
	v_fmac_f32_e32 v94, 0xbee1c552, v92
	v_fmac_f32_e32 v96, 0xbee1c552, v92
	v_add_f32_e32 v40, v73, v41
	v_add_f32_e32 v42, v93, v95
	v_add_f32_e32 v41, v98, v41
	v_add_f32_e32 v43, v90, v95
	ds_write2_b64 v49, v[12:13], v[18:19] offset1:40
	ds_write2_b64 v49, v[20:21], v[22:23] offset0:80 offset1:120
	ds_write2_b64 v49, v[24:25], v[26:27] offset0:160 offset1:200
	ds_write_b64 v49, v[28:29] offset:1920
	v_add_f32_e32 v12, v100, v30
	v_sub_f32_e32 v13, v31, v77
	v_add_f32_e32 v18, v97, v35
	v_sub_f32_e32 v19, v37, v36
	v_sub_f32_e32 v20, v33, v91
	v_add_f32_e32 v21, v76, v34
	v_add_f32_e32 v22, v91, v33
	v_sub_f32_e32 v23, v34, v76
	v_sub_f32_e32 v24, v35, v97
	v_add_f32_e32 v25, v36, v37
	v_sub_f32_e32 v26, v30, v100
	v_add_f32_e32 v27, v77, v31
	v_add_f32_e32 v28, v101, v38
	v_sub_f32_e32 v29, v39, v99
	v_add_f32_e32 v30, v103, v41
	v_sub_f32_e32 v31, v43, v96
	v_sub_f32_e32 v32, v40, v102
	v_add_f32_e32 v33, v94, v42
	v_add_f32_e32 v34, v102, v40
	v_sub_f32_e32 v35, v42, v94
	v_sub_f32_e32 v36, v41, v103
	v_add_f32_e32 v37, v96, v43
	v_sub_f32_e32 v38, v38, v101
	v_add_f32_e32 v39, v99, v39
	ds_write2_b64 v55, v[14:15], v[12:13] offset1:40
	ds_write2_b64 v55, v[18:19], v[20:21] offset0:80 offset1:120
	ds_write2_b64 v55, v[22:23], v[24:25] offset0:160 offset1:200
	ds_write_b64 v55, v[26:27] offset:1920
	ds_write2_b64 v70, v[16:17], v[28:29] offset1:40
	ds_write2_b64 v70, v[30:31], v[32:33] offset0:80 offset1:120
	ds_write2_b64 v70, v[34:35], v[36:37] offset0:160 offset1:200
	ds_write_b64 v70, v[38:39] offset:1920
	s_and_saveexec_b32 s2, s1
	s_cbranch_execz .LBB0_27
; %bb.26:
	v_and_b32_e32 v12, 0xff, v66
	v_mul_lo_u16 v12, 0xcd, v12
	v_lshrrev_b16 v12, 13, v12
	v_mul_lo_u16 v12, v12, 40
	v_sub_nc_u16 v12, v66, v12
	v_and_b32_e32 v24, 0xff, v12
	v_mul_u32_u24_e32 v12, 6, v24
	v_lshl_add_u32 v24, v24, 3, 0
	v_lshlrev_b32_e32 v20, 3, v12
	v_add_nc_u32_e32 v25, 0x2000, v24
	v_add_nc_u32_e32 v26, 0x2800, v24
	s_clause 0x2
	global_load_dwordx4 v[12:15], v20, s[12:13] offset:304
	global_load_dwordx4 v[16:19], v20, s[12:13] offset:336
	;; [unrolled: 1-line block ×3, first 2 shown]
	s_waitcnt vmcnt(2)
	v_mul_f32_e32 v27, v5, v13
	s_waitcnt vmcnt(1)
	v_mul_f32_e32 v28, v11, v19
	;; [unrolled: 2-line block ×3, first 2 shown]
	v_mul_f32_e32 v30, v1, v21
	v_mul_f32_e32 v31, v7, v15
	;; [unrolled: 1-line block ×9, first 2 shown]
	v_fmac_f32_e32 v27, v4, v12
	v_fmac_f32_e32 v28, v10, v18
	;; [unrolled: 1-line block ×6, first 2 shown]
	v_fma_f32 v0, v11, v18, -v19
	v_fma_f32 v2, v5, v12, -v13
	;; [unrolled: 1-line block ×6, first 2 shown]
	v_add_f32_e32 v9, v2, v0
	v_add_f32_e32 v12, v27, v28
	;; [unrolled: 1-line block ×4, first 2 shown]
	v_sub_f32_e32 v6, v27, v28
	v_sub_f32_e32 v7, v29, v30
	;; [unrolled: 1-line block ×3, first 2 shown]
	v_add_f32_e32 v10, v1, v3
	v_add_f32_e32 v13, v30, v29
	v_sub_f32_e32 v0, v2, v0
	v_sub_f32_e32 v1, v3, v1
	;; [unrolled: 1-line block ×3, first 2 shown]
	v_add_f32_e32 v16, v11, v9
	v_add_f32_e32 v19, v14, v12
	v_sub_f32_e32 v3, v6, v7
	v_sub_f32_e32 v4, v7, v8
	v_add_f32_e32 v5, v7, v8
	v_sub_f32_e32 v7, v9, v10
	v_sub_f32_e32 v15, v10, v11
	;; [unrolled: 1-line block ×6, first 2 shown]
	v_add_f32_e32 v1, v1, v2
	v_sub_f32_e32 v8, v8, v6
	v_add_f32_e32 v10, v10, v16
	v_add_f32_e32 v13, v13, v19
	v_sub_f32_e32 v2, v2, v0
	v_sub_f32_e32 v9, v11, v9
	;; [unrolled: 1-line block ×3, first 2 shown]
	v_mul_f32_e32 v4, 0x3f08b237, v4
	v_add_f32_e32 v5, v5, v6
	v_mul_f32_e32 v6, 0x3f4a47b2, v7
	v_mul_f32_e32 v7, 0x3d64c772, v15
	;; [unrolled: 1-line block ×4, first 2 shown]
	v_add_f32_e32 v17, v1, v0
	v_mul_f32_e32 v19, 0xbf5ff5aa, v8
	v_add_f32_e32 v1, v69, v10
	v_add_f32_e32 v0, v68, v13
	v_mul_f32_e32 v14, 0x3d64c772, v18
	v_mul_f32_e32 v21, 0xbf5ff5aa, v2
	v_fmamk_f32 v22, v3, 0xbeae86e6, v4
	v_fmamk_f32 v15, v15, 0x3d64c772, v6
	;; [unrolled: 1-line block ×4, first 2 shown]
	v_fma_f32 v19, 0x3eae86e6, v3, -v19
	v_fma_f32 v3, 0xbf3bfb3b, v9, -v6
	;; [unrolled: 1-line block ×3, first 2 shown]
	v_fmamk_f32 v9, v10, 0xbf955555, v1
	v_fmamk_f32 v10, v13, 0xbf955555, v0
	v_fma_f32 v6, 0xbf3bfb3b, v11, -v12
	v_fma_f32 v20, 0x3eae86e6, v20, -v21
	;; [unrolled: 1-line block ×5, first 2 shown]
	v_fmac_f32_e32 v22, 0xbee1c552, v5
	v_fmac_f32_e32 v23, 0xbee1c552, v17
	v_add_f32_e32 v12, v15, v9
	v_add_f32_e32 v14, v18, v10
	v_fmac_f32_e32 v19, 0xbee1c552, v5
	v_fmac_f32_e32 v20, 0xbee1c552, v17
	;; [unrolled: 1-line block ×4, first 2 shown]
	v_add_f32_e32 v11, v3, v9
	v_add_f32_e32 v6, v6, v10
	v_add_f32_e32 v9, v7, v9
	v_add_f32_e32 v15, v4, v10
	v_add_f32_e32 v3, v22, v12
	v_sub_f32_e32 v13, v12, v22
	v_add_f32_e32 v12, v23, v14
	v_add_f32_e32 v5, v19, v11
	v_sub_f32_e32 v7, v9, v8
	v_add_f32_e32 v9, v8, v9
	v_sub_f32_e32 v8, v15, v2
	v_sub_f32_e32 v11, v11, v19
	v_add_f32_e32 v10, v20, v6
	v_sub_f32_e32 v4, v6, v20
	v_add_f32_e32 v6, v2, v15
	v_sub_f32_e32 v2, v14, v23
	ds_write2_b64 v25, v[0:1], v[12:13] offset0:96 offset1:136
	ds_write2_b64 v25, v[10:11], v[8:9] offset0:176 offset1:216
	ds_write2_b64 v26, v[6:7], v[4:5] offset1:40
	ds_write_b64 v24, v[2:3] offset:10880
.LBB0_27:
	s_or_b32 exec_lo, exec_lo, s2
	v_lshlrev_b32_e32 v70, 2, v48
	s_waitcnt lgkmcnt(0)
	s_barrier
	buffer_gl0_inv
	v_add_nc_u32_e32 v49, 0x1800, v59
	v_lshlrev_b64 v[0:1], 3, v[70:71]
	v_lshlrev_b32_e32 v70, 2, v54
	v_add_nc_u32_e32 v55, 0x2000, v59
	v_add_nc_u32_e32 v110, 0x800, v59
	;; [unrolled: 1-line block ×4, first 2 shown]
	v_add_co_u32 v4, s1, s12, v0
	v_add_co_ci_u32_e64 v5, s1, s13, v1, s1
	v_lshlrev_b64 v[0:1], 3, v[70:71]
	v_add_co_u32 v2, s1, 0x800, v4
	v_add_co_ci_u32_e64 v3, s1, 0, v5, s1
	v_add_co_u32 v4, s1, 0x8b0, v4
	v_add_co_ci_u32_e64 v5, s1, 0, v5, s1
	global_load_dwordx4 v[10:13], v[2:3], off offset:176
	v_lshlrev_b32_e32 v70, 2, v67
	v_add_nc_u32_e32 v118, 0x2800, v59
	global_load_dwordx4 v[14:17], v[4:5], off offset:16
	v_add_co_u32 v2, s1, s12, v0
	v_add_co_ci_u32_e64 v3, s1, s13, v1, s1
	v_lshlrev_b64 v[4:5], 3, v[70:71]
	v_add_co_u32 v0, s1, 0x800, v2
	v_add_co_ci_u32_e64 v1, s1, 0, v3, s1
	v_add_co_u32 v2, s1, 0x8b0, v2
	v_add_co_ci_u32_e64 v3, s1, 0, v3, s1
	s_clause 0x1
	global_load_dwordx4 v[18:21], v[0:1], off offset:176
	global_load_dwordx4 v[22:25], v[2:3], off offset:16
	v_add_co_u32 v2, s1, s12, v4
	v_add_co_ci_u32_e64 v3, s1, s13, v5, s1
	v_lshlrev_b32_e32 v70, 2, v66
	v_add_co_u32 v0, s1, 0x800, v2
	v_add_co_ci_u32_e64 v1, s1, 0, v3, s1
	v_add_co_u32 v2, s1, 0x8b0, v2
	v_add_co_ci_u32_e64 v3, s1, 0, v3, s1
	s_clause 0x1
	global_load_dwordx4 v[26:29], v[0:1], off offset:176
	global_load_dwordx4 v[30:33], v[2:3], off offset:16
	v_lshlrev_b64 v[0:1], 3, v[70:71]
	v_lshlrev_b32_e32 v70, 2, v65
	s_add_u32 s2, s12, 0x2bb0
	s_addc_u32 s3, s13, 0
	s_mov_b32 s6, exec_lo
	v_add_co_u32 v2, s1, s12, v0
	v_add_co_ci_u32_e64 v3, s1, s13, v1, s1
	v_add_co_u32 v0, s1, 0x800, v2
	v_add_co_ci_u32_e64 v1, s1, 0, v3, s1
	;; [unrolled: 2-line block ×3, first 2 shown]
	s_clause 0x1
	global_load_dwordx4 v[34:37], v[0:1], off offset:176
	global_load_dwordx4 v[38:41], v[2:3], off offset:16
	v_lshlrev_b64 v[0:1], 3, v[70:71]
	v_add_co_u32 v2, s1, s12, v0
	v_add_co_ci_u32_e64 v3, s1, s13, v1, s1
	v_add_co_u32 v0, s1, 0x800, v2
	v_add_co_ci_u32_e64 v1, s1, 0, v3, s1
	;; [unrolled: 2-line block ×3, first 2 shown]
	s_clause 0x1
	global_load_dwordx4 v[42:45], v[0:1], off offset:176
	global_load_dwordx4 v[68:71], v[2:3], off offset:16
	ds_read_b64 v[46:47], v80
	ds_read_b64 v[76:77], v86
	ds_read2_b64 v[72:75], v49 offset0:72 offset1:128
	ds_read2_b64 v[90:93], v55 offset0:40 offset1:96
	ds_read_b64 v[8:9], v59
	ds_read_b64 v[6:7], v84
	;; [unrolled: 1-line block ×5, first 2 shown]
	ds_read2_b64 v[94:97], v110 offset0:80 offset1:136
	ds_read2_b64 v[98:101], v98 offset0:104 offset1:160
	;; [unrolled: 1-line block ×7, first 2 shown]
	s_waitcnt vmcnt(0) lgkmcnt(0)
	s_barrier
	buffer_gl0_inv
	v_mul_f32_e32 v49, v11, v47
	v_mul_f32_e32 v11, v11, v46
	;; [unrolled: 1-line block ×8, first 2 shown]
	v_fmac_f32_e32 v49, v10, v46
	v_fma_f32 v10, v10, v47, -v11
	v_fmac_f32_e32 v55, v12, v76
	v_fma_f32 v11, v12, v77, -v13
	;; [unrolled: 2-line block ×4, first 2 shown]
	v_sub_f32_e32 v77, v55, v49
	v_add_f32_e32 v93, v9, v10
	v_mul_f32_e32 v12, v95, v19
	v_mul_f32_e32 v14, v94, v19
	;; [unrolled: 1-line block ×8, first 2 shown]
	v_fmac_f32_e32 v12, v94, v18
	v_fma_f32 v14, v95, v18, -v14
	v_fmac_f32_e32 v16, v98, v20
	v_fma_f32 v18, v99, v20, -v15
	;; [unrolled: 2-line block ×4, first 2 shown]
	v_mul_f32_e32 v19, v97, v27
	v_mul_f32_e32 v15, v96, v27
	;; [unrolled: 1-line block ×8, first 2 shown]
	v_add_f32_e32 v25, v8, v49
	v_add_f32_e32 v27, v55, v122
	v_sub_f32_e32 v74, v49, v55
	v_sub_f32_e32 v75, v123, v122
	v_add_f32_e32 v76, v49, v123
	v_sub_f32_e32 v92, v122, v123
	v_add_f32_e32 v94, v11, v13
	v_sub_f32_e32 v98, v10, v11
	v_sub_f32_e32 v99, v46, v13
	v_add_f32_e32 v102, v10, v46
	v_sub_f32_e32 v31, v10, v46
	v_sub_f32_e32 v33, v11, v13
	;; [unrolled: 1-line block ×5, first 2 shown]
	v_fmac_f32_e32 v19, v96, v26
	v_fma_f32 v26, v97, v26, -v15
	v_fmac_f32_e32 v24, v100, v28
	v_fma_f32 v28, v101, v28, -v17
	;; [unrolled: 2-line block ×4, first 2 shown]
	v_mul_f32_e32 v30, v111, v35
	v_mul_f32_e32 v15, v110, v35
	v_mul_f32_e32 v100, v115, v37
	v_mul_f32_e32 v17, v114, v37
	v_mul_f32_e32 v101, v109, v39
	v_mul_f32_e32 v20, v108, v39
	v_mul_f32_e32 v39, v119, v41
	v_mul_f32_e32 v22, v118, v41
	v_add_f32_e32 v25, v25, v55
	v_fma_f32 v10, -0.5, v27, v8
	v_add_f32_e32 v27, v74, v75
	v_fma_f32 v8, -0.5, v76, v8
	v_add_f32_e32 v32, v77, v92
	v_add_f32_e32 v35, v93, v11
	v_fma_f32 v11, -0.5, v94, v9
	v_add_f32_e32 v37, v98, v99
	v_fmac_f32_e32 v9, -0.5, v102
	v_add_f32_e32 v55, v6, v12
	v_add_f32_e32 v74, v16, v21
	v_sub_f32_e32 v77, v12, v16
	v_sub_f32_e32 v92, v47, v21
	v_add_f32_e32 v99, v7, v14
	v_add_f32_e32 v102, v18, v23
	;; [unrolled: 1-line block ×3, first 2 shown]
	v_sub_f32_e32 v49, v49, v123
	v_add_f32_e32 v41, v103, v124
	v_sub_f32_e32 v75, v14, v72
	v_add_f32_e32 v93, v12, v47
	v_sub_f32_e32 v94, v16, v12
	v_sub_f32_e32 v98, v21, v47
	;; [unrolled: 1-line block ×6, first 2 shown]
	v_fmac_f32_e32 v30, v110, v34
	v_fma_f32 v110, v111, v34, -v15
	v_fmac_f32_e32 v100, v114, v36
	v_fma_f32 v111, v115, v36, -v17
	;; [unrolled: 2-line block ×4, first 2 shown]
	v_mul_f32_e32 v114, v113, v43
	v_mul_f32_e32 v20, v112, v43
	v_mul_f32_e32 v115, v117, v45
	v_mul_f32_e32 v22, v116, v45
	v_mul_f32_e32 v118, v91, v69
	v_mul_f32_e32 v34, v90, v69
	v_mul_f32_e32 v45, v121, v71
	v_mul_f32_e32 v36, v120, v71
	v_add_f32_e32 v25, v25, v122
	v_fmamk_f32 v14, v33, 0x3f737871, v8
	v_fmac_f32_e32 v8, 0xbf737871, v33
	v_add_f32_e32 v38, v55, v16
	v_fma_f32 v16, -0.5, v74, v6
	v_add_f32_e32 v40, v77, v92
	v_add_f32_e32 v55, v99, v18
	v_fma_f32 v17, -0.5, v102, v7
	v_fmac_f32_e32 v7, -0.5, v107
	v_add_f32_e32 v74, v4, v19
	v_add_f32_e32 v77, v24, v29
	;; [unrolled: 1-line block ×4, first 2 shown]
	v_sub_f32_e32 v76, v18, v23
	v_sub_f32_e32 v103, v12, v47
	;; [unrolled: 1-line block ×3, first 2 shown]
	v_fmamk_f32 v12, v31, 0xbf737871, v10
	v_fmac_f32_e32 v10, 0x3f737871, v31
	v_add_f32_e32 v35, v35, v13
	v_fmamk_f32 v13, v49, 0x3f737871, v11
	v_fmac_f32_e32 v11, 0xbf737871, v49
	v_fma_f32 v6, -0.5, v93, v6
	v_add_f32_e32 v43, v94, v98
	v_add_f32_e32 v69, v105, v106
	v_sub_f32_e32 v93, v28, v96
	v_sub_f32_e32 v94, v19, v24
	;; [unrolled: 1-line block ×7, first 2 shown]
	v_fmac_f32_e32 v114, v112, v42
	v_fma_f32 v112, v113, v42, -v20
	v_fmac_f32_e32 v118, v90, v68
	v_fma_f32 v90, v91, v68, -v34
	;; [unrolled: 2-line block ×3, first 2 shown]
	v_add_f32_e32 v18, v25, v123
	v_fmac_f32_e32 v14, 0xbf167918, v31
	v_fmac_f32_e32 v8, 0x3f167918, v31
	v_add_f32_e32 v31, v38, v21
	v_fmamk_f32 v20, v75, 0xbf737871, v16
	v_fmac_f32_e32 v16, 0x3f737871, v75
	v_add_f32_e32 v34, v74, v24
	v_fma_f32 v24, -0.5, v77, v4
	v_fma_f32 v4, -0.5, v99, v4
	;; [unrolled: 1-line block ×3, first 2 shown]
	v_add_f32_e32 v36, v2, v30
	v_add_f32_e32 v38, v100, v101
	;; [unrolled: 1-line block ×3, first 2 shown]
	v_fmamk_f32 v15, v95, 0xbf737871, v9
	v_fmac_f32_e32 v9, 0x3f737871, v95
	v_add_f32_e32 v71, v124, v125
	v_sub_f32_e32 v92, v26, v97
	v_add_f32_e32 v106, v5, v26
	v_sub_f32_e32 v124, v26, v28
	v_sub_f32_e32 v125, v97, v96
	v_fmac_f32_e32 v115, v116, v44
	v_fma_f32 v113, v117, v44, -v22
	v_fmac_f32_e32 v12, 0xbf167918, v33
	v_fmac_f32_e32 v10, 0x3f167918, v33
	v_fmac_f32_e32 v13, 0x3f167918, v95
	v_fmac_f32_e32 v11, 0xbf167918, v95
	v_fmamk_f32 v22, v76, 0x3f737871, v6
	v_fmac_f32_e32 v6, 0xbf737871, v76
	v_add_f32_e32 v33, v55, v23
	v_add_f32_e32 v42, v94, v98
	;; [unrolled: 1-line block ×3, first 2 shown]
	v_sub_f32_e32 v55, v110, v109
	v_sub_f32_e32 v68, v111, v108
	;; [unrolled: 1-line block ×4, first 2 shown]
	v_add_f32_e32 v98, v3, v110
	v_sub_f32_e32 v102, v30, v39
	v_fmac_f32_e32 v14, 0x3e9e377a, v32
	v_fmac_f32_e32 v8, 0x3e9e377a, v32
	;; [unrolled: 1-line block ×4, first 2 shown]
	v_add_f32_e32 v34, v34, v29
	v_fmamk_f32 v30, v93, 0x3f737871, v4
	v_fmac_f32_e32 v4, 0xbf737871, v93
	v_fmamk_f32 v29, v119, 0x3f737871, v25
	v_fmac_f32_e32 v25, 0xbf737871, v119
	v_add_f32_e32 v36, v36, v100
	v_fma_f32 v32, -0.5, v38, v2
	v_fma_f32 v2, -0.5, v91, v2
	v_add_f32_e32 v126, v26, v97
	v_sub_f32_e32 v26, v28, v26
	v_sub_f32_e32 v127, v96, v97
	v_add_f32_e32 v19, v35, v46
	v_fmac_f32_e32 v15, 0x3f167918, v49
	v_fmac_f32_e32 v9, 0xbf167918, v49
	v_add_f32_e32 v35, v106, v28
	v_add_f32_e32 v46, v124, v125
	v_sub_f32_e32 v77, v39, v101
	v_sub_f32_e32 v95, v101, v39
	v_add_f32_e32 v99, v111, v108
	v_fmac_f32_e32 v13, 0x3e9e377a, v37
	v_fmac_f32_e32 v11, 0x3e9e377a, v37
	;; [unrolled: 1-line block ×4, first 2 shown]
	v_fmamk_f32 v28, v92, 0xbf737871, v24
	v_fmac_f32_e32 v24, 0x3f737871, v92
	v_add_f32_e32 v37, v98, v111
	v_fmac_f32_e32 v20, 0x3e9e377a, v40
	v_fmac_f32_e32 v16, 0x3e9e377a, v40
	;; [unrolled: 1-line block ×6, first 2 shown]
	v_add_f32_e32 v40, v36, v101
	v_fmamk_f32 v36, v55, 0xbf737871, v32
	v_fmac_f32_e32 v32, 0x3f737871, v55
	v_fmamk_f32 v38, v68, 0x3f737871, v2
	v_fmac_f32_e32 v2, 0xbf737871, v68
	;; [unrolled: 2-line block ×3, first 2 shown]
	v_fmac_f32_e32 v5, -0.5, v126
	v_add_f32_e32 v49, v26, v127
	v_fmac_f32_e32 v12, 0x3e9e377a, v27
	v_fmac_f32_e32 v10, 0x3e9e377a, v27
	;; [unrolled: 1-line block ×4, first 2 shown]
	v_add_f32_e32 v26, v31, v47
	v_add_f32_e32 v27, v33, v72
	;; [unrolled: 1-line block ×4, first 2 shown]
	v_fma_f32 v33, -0.5, v99, v3
	v_fmac_f32_e32 v22, 0x3e9e377a, v43
	v_fmac_f32_e32 v6, 0x3e9e377a, v43
	;; [unrolled: 1-line block ×4, first 2 shown]
	v_add_f32_e32 v43, v37, v108
	v_fmac_f32_e32 v30, 0x3e9e377a, v44
	v_fmac_f32_e32 v4, 0x3e9e377a, v44
	;; [unrolled: 1-line block ×7, first 2 shown]
	v_add_f32_e32 v40, v40, v39
	v_fmac_f32_e32 v2, 0x3f167918, v55
	v_add_f32_e32 v39, v110, v109
	v_sub_f32_e32 v44, v110, v111
	v_sub_f32_e32 v46, v109, v108
	v_fmac_f32_e32 v21, 0x3f167918, v104
	v_fmac_f32_e32 v17, 0xbf167918, v104
	v_fmamk_f32 v31, v122, 0xbf737871, v5
	v_fmac_f32_e32 v5, 0x3f737871, v122
	v_fmamk_f32 v37, v102, 0x3f737871, v33
	v_fmac_f32_e32 v28, 0x3e9e377a, v42
	v_fmac_f32_e32 v24, 0x3e9e377a, v42
	;; [unrolled: 1-line block ×5, first 2 shown]
	v_sub_f32_e32 v42, v100, v101
	v_fmac_f32_e32 v2, 0x3e9e377a, v47
	v_fmac_f32_e32 v3, -0.5, v39
	v_add_f32_e32 v41, v43, v109
	v_add_f32_e32 v43, v44, v46
	v_fmac_f32_e32 v33, 0xbf737871, v102
	v_sub_f32_e32 v44, v111, v110
	v_sub_f32_e32 v46, v108, v109
	v_add_f32_e32 v47, v115, v118
	v_fmac_f32_e32 v21, 0x3e9e377a, v69
	v_fmac_f32_e32 v17, 0x3e9e377a, v69
	;; [unrolled: 1-line block ×5, first 2 shown]
	v_fmamk_f32 v39, v42, 0xbf737871, v3
	v_fmac_f32_e32 v33, 0xbf167918, v42
	v_add_f32_e32 v46, v44, v46
	v_fmac_f32_e32 v3, 0x3f737871, v42
	v_add_f32_e32 v44, v0, v114
	v_fma_f32 v42, -0.5, v47, v0
	v_sub_f32_e32 v47, v112, v70
	v_add_f32_e32 v69, v114, v45
	v_fmac_f32_e32 v31, 0x3e9e377a, v49
	v_fmac_f32_e32 v5, 0x3e9e377a, v49
	;; [unrolled: 1-line block ×4, first 2 shown]
	v_add_f32_e32 v43, v44, v115
	v_fmamk_f32 v44, v47, 0xbf737871, v42
	v_sub_f32_e32 v49, v113, v90
	v_sub_f32_e32 v55, v114, v115
	;; [unrolled: 1-line block ×3, first 2 shown]
	v_fmac_f32_e32 v42, 0x3f737871, v47
	v_fma_f32 v0, -0.5, v69, v0
	v_fmamk_f32 v23, v104, 0xbf737871, v7
	v_fmac_f32_e32 v7, 0x3f737871, v104
	v_fmac_f32_e32 v39, 0x3f167918, v102
	;; [unrolled: 1-line block ×3, first 2 shown]
	v_add_f32_e32 v43, v43, v118
	v_fmac_f32_e32 v44, 0xbf167918, v49
	v_add_f32_e32 v55, v55, v68
	v_fmac_f32_e32 v42, 0x3f167918, v49
	v_fmamk_f32 v68, v49, 0x3f737871, v0
	v_fmac_f32_e32 v0, 0xbf737871, v49
	v_add_f32_e32 v49, v1, v112
	v_fmac_f32_e32 v23, 0x3f167918, v103
	v_fmac_f32_e32 v7, 0xbf167918, v103
	v_fmac_f32_e32 v39, 0x3e9e377a, v46
	v_fmac_f32_e32 v3, 0x3e9e377a, v46
	v_add_f32_e32 v46, v43, v45
	v_fmac_f32_e32 v44, 0x3e9e377a, v55
	v_fmac_f32_e32 v42, 0x3e9e377a, v55
	v_add_f32_e32 v43, v113, v90
	v_sub_f32_e32 v55, v115, v114
	v_sub_f32_e32 v69, v118, v45
	v_fmac_f32_e32 v68, 0xbf167918, v47
	v_fmac_f32_e32 v0, 0x3f167918, v47
	v_add_f32_e32 v47, v49, v113
	v_add_f32_e32 v49, v112, v70
	v_fmac_f32_e32 v23, 0x3e9e377a, v71
	v_fmac_f32_e32 v7, 0x3e9e377a, v71
	v_fma_f32 v43, -0.5, v43, v1
	v_sub_f32_e32 v71, v114, v45
	v_add_f32_e32 v55, v55, v69
	v_sub_f32_e32 v72, v115, v118
	v_fmac_f32_e32 v1, -0.5, v49
	v_add_f32_e32 v34, v34, v73
	v_fmamk_f32 v45, v71, 0x3f737871, v43
	v_fmac_f32_e32 v68, 0x3e9e377a, v55
	v_fmac_f32_e32 v0, 0x3e9e377a, v55
	v_sub_f32_e32 v49, v112, v113
	v_sub_f32_e32 v55, v70, v90
	v_fmac_f32_e32 v43, 0xbf737871, v71
	v_fmamk_f32 v69, v72, 0xbf737871, v1
	v_sub_f32_e32 v73, v113, v112
	v_sub_f32_e32 v74, v90, v70
	v_fmac_f32_e32 v1, 0x3f737871, v72
	v_add_f32_e32 v35, v35, v96
	v_add_f32_e32 v47, v47, v90
	v_fmac_f32_e32 v45, 0x3f167918, v72
	v_add_f32_e32 v49, v49, v55
	v_fmac_f32_e32 v43, 0xbf167918, v72
	v_fmac_f32_e32 v69, 0x3f167918, v71
	v_add_f32_e32 v55, v73, v74
	v_fmac_f32_e32 v1, 0xbf167918, v71
	v_add_f32_e32 v35, v35, v97
	v_add_f32_e32 v47, v47, v70
	v_fmac_f32_e32 v45, 0x3e9e377a, v49
	v_fmac_f32_e32 v43, 0x3e9e377a, v49
	;; [unrolled: 1-line block ×4, first 2 shown]
	ds_write_b64 v59, v[18:19]
	ds_write_b64 v59, v[12:13] offset:2240
	ds_write_b64 v59, v[14:15] offset:4480
	ds_write_b64 v59, v[8:9] offset:6720
	ds_write_b64 v59, v[10:11] offset:8960
	ds_write_b64 v84, v[26:27]
	ds_write_b64 v84, v[20:21] offset:2240
	ds_write_b64 v84, v[22:23] offset:4480
	ds_write_b64 v84, v[6:7] offset:6720
	ds_write_b64 v84, v[16:17] offset:8960
	;; [unrolled: 5-line block ×5, first 2 shown]
	s_waitcnt lgkmcnt(0)
	s_barrier
	buffer_gl0_inv
	ds_read_b64 v[2:3], v59
	v_lshlrev_b32_e32 v0, 3, v48
                                        ; implicit-def: $vgpr1
                                        ; implicit-def: $vgpr5
	v_sub_nc_u32_e32 v4, 0, v0
	v_cmpx_ne_u32_e32 0, v48
	s_xor_b32 s6, exec_lo, s6
	s_cbranch_execz .LBB0_29
; %bb.28:
	v_mov_b32_e32 v49, 0
	v_lshlrev_b64 v[0:1], 3, v[48:49]
	v_add_co_u32 v0, s1, s2, v0
	v_add_co_ci_u32_e64 v1, s1, s3, v1, s1
	global_load_dwordx2 v[6:7], v[0:1], off
	ds_read_b64 v[0:1], v4 offset:11200
	s_waitcnt lgkmcnt(0)
	v_sub_f32_e32 v5, v2, v0
	v_add_f32_e32 v8, v1, v3
	v_sub_f32_e32 v1, v3, v1
	v_add_f32_e32 v0, v0, v2
	v_mul_f32_e32 v3, 0.5, v5
	v_mul_f32_e32 v2, 0.5, v8
	;; [unrolled: 1-line block ×3, first 2 shown]
	s_waitcnt vmcnt(0)
	v_mul_f32_e32 v5, v7, v3
	v_fma_f32 v8, v2, v7, v1
	v_fma_f32 v1, v2, v7, -v1
	v_fma_f32 v9, 0.5, v0, v5
	v_fma_f32 v0, v0, 0.5, -v5
	v_fma_f32 v5, -v6, v3, v8
	v_fma_f32 v1, -v6, v3, v1
	v_fmac_f32_e32 v9, v6, v2
	v_fma_f32 v0, -v6, v2, v0
                                        ; implicit-def: $vgpr2_vgpr3
	ds_write_b32 v59, v9
.LBB0_29:
	s_andn2_saveexec_b32 s1, s6
	s_cbranch_execz .LBB0_31
; %bb.30:
	v_mov_b32_e32 v5, 0
	s_waitcnt lgkmcnt(0)
	v_add_f32_e32 v6, v2, v3
	v_sub_f32_e32 v0, v2, v3
	ds_read_b32 v1, v5 offset:5604
	s_waitcnt lgkmcnt(0)
	v_xor_b32_e32 v2, 0x80000000, v1
	v_mov_b32_e32 v1, v5
	ds_write_b32 v59, v6
	ds_write_b32 v5, v2 offset:5604
.LBB0_31:
	s_or_b32 exec_lo, exec_lo, s1
	v_mov_b32_e32 v55, 0
	s_waitcnt lgkmcnt(0)
	v_lshlrev_b64 v[2:3], 3, v[54:55]
	v_mov_b32_e32 v68, v55
	v_lshlrev_b64 v[6:7], 3, v[67:68]
	v_add_co_u32 v2, s1, s2, v2
	v_add_co_ci_u32_e64 v3, s1, s3, v3, s1
	v_mov_b32_e32 v67, v55
	v_add_co_u32 v6, s1, s2, v6
	global_load_dwordx2 v[2:3], v[2:3], off
	v_add_co_ci_u32_e64 v7, s1, s3, v7, s1
	v_lshlrev_b64 v[8:9], 3, v[66:67]
	v_mov_b32_e32 v66, v55
	global_load_dwordx2 v[6:7], v[6:7], off
	v_add_co_u32 v8, s1, s2, v8
	v_add_co_ci_u32_e64 v9, s1, s3, v9, s1
	v_lshlrev_b64 v[10:11], 3, v[65:66]
	v_mov_b32_e32 v65, v55
	global_load_dwordx2 v[8:9], v[8:9], off
	v_add_co_u32 v10, s1, s2, v10
	;; [unrolled: 5-line block ×4, first 2 shown]
	v_add_co_ci_u32_e64 v15, s1, s3, v15, s1
	v_lshlrev_b64 v[16:17], 3, v[62:63]
	v_mov_b32_e32 v62, v55
	global_load_dwordx2 v[14:15], v[14:15], off
	ds_write_b32 v59, v5 offset:4
	ds_write_b64 v4, v[0:1] offset:11200
	v_mov_b32_e32 v59, v55
	v_add_co_u32 v0, s1, s2, v16
	v_add_co_ci_u32_e64 v1, s1, s3, v17, s1
	ds_read_b64 v[16:17], v84
	ds_read_b64 v[18:19], v4 offset:10752
	global_load_dwordx2 v[0:1], v[0:1], off
	s_waitcnt lgkmcnt(0)
	v_sub_f32_e32 v5, v16, v18
	v_add_f32_e32 v20, v17, v19
	v_sub_f32_e32 v17, v17, v19
	v_add_f32_e32 v18, v16, v18
	v_mul_f32_e32 v5, 0.5, v5
	v_mul_f32_e32 v20, 0.5, v20
	;; [unrolled: 1-line block ×3, first 2 shown]
	s_waitcnt vmcnt(6)
	v_mul_f32_e32 v19, v3, v5
	v_fma_f32 v21, v20, v3, v17
	v_fma_f32 v3, v20, v3, -v17
	v_fma_f32 v16, 0.5, v18, v19
	v_fma_f32 v22, v18, 0.5, -v19
	v_lshlrev_b64 v[18:19], 3, v[58:59]
	v_fma_f32 v17, -v2, v5, v21
	v_fma_f32 v3, -v2, v5, v3
	v_fmac_f32_e32 v16, v2, v20
	v_fma_f32 v2, -v2, v20, v22
	v_mov_b32_e32 v58, v55
	v_add_co_u32 v18, s1, s2, v18
	v_add_co_ci_u32_e64 v19, s1, s3, v19, s1
	ds_write_b64 v84, v[16:17]
	ds_write_b64 v4, v[2:3] offset:10752
	ds_read_b64 v[2:3], v83
	ds_read_b64 v[16:17], v4 offset:10304
	global_load_dwordx2 v[18:19], v[18:19], off
	s_waitcnt lgkmcnt(0)
	v_sub_f32_e32 v5, v2, v16
	v_add_f32_e32 v20, v3, v17
	v_sub_f32_e32 v3, v3, v17
	v_add_f32_e32 v16, v2, v16
	v_mul_f32_e32 v5, 0.5, v5
	v_mul_f32_e32 v20, 0.5, v20
	;; [unrolled: 1-line block ×3, first 2 shown]
	s_waitcnt vmcnt(6)
	v_mul_f32_e32 v17, v7, v5
	v_fma_f32 v21, v20, v7, v3
	v_fma_f32 v7, v20, v7, -v3
	v_fma_f32 v2, 0.5, v16, v17
	v_fma_f32 v22, v16, 0.5, -v17
	v_lshlrev_b64 v[16:17], 3, v[61:62]
	v_fma_f32 v3, -v6, v5, v21
	v_fma_f32 v7, -v6, v5, v7
	v_fmac_f32_e32 v2, v6, v20
	v_fma_f32 v6, -v6, v20, v22
	ds_write_b64 v83, v[2:3]
	ds_write_b64 v4, v[6:7] offset:10304
	v_add_co_u32 v16, s1, s2, v16
	v_add_co_ci_u32_e64 v17, s1, s3, v17, s1
	ds_read_b64 v[2:3], v82
	ds_read_b64 v[5:6], v4 offset:9856
	v_mov_b32_e32 v61, v55
	global_load_dwordx2 v[16:17], v[16:17], off
	s_waitcnt lgkmcnt(0)
	v_sub_f32_e32 v7, v2, v5
	v_add_f32_e32 v20, v3, v6
	v_sub_f32_e32 v3, v3, v6
	v_add_f32_e32 v5, v2, v5
	v_mul_f32_e32 v7, 0.5, v7
	v_mul_f32_e32 v20, 0.5, v20
	;; [unrolled: 1-line block ×3, first 2 shown]
	s_waitcnt vmcnt(6)
	v_mul_f32_e32 v6, v9, v7
	v_fma_f32 v21, v20, v9, v3
	v_fma_f32 v9, v20, v9, -v3
	v_fma_f32 v2, 0.5, v5, v6
	v_fma_f32 v22, v5, 0.5, -v6
	v_lshlrev_b64 v[5:6], 3, v[60:61]
	v_fma_f32 v3, -v8, v7, v21
	v_fma_f32 v9, -v8, v7, v9
	v_fmac_f32_e32 v2, v8, v20
	v_fma_f32 v8, -v8, v20, v22
	ds_write_b64 v82, v[2:3]
	ds_write_b64 v4, v[8:9] offset:9856
	v_add_co_u32 v5, s1, s2, v5
	v_add_co_ci_u32_e64 v6, s1, s3, v6, s1
	ds_read_b64 v[2:3], v81
	ds_read_b64 v[7:8], v4 offset:9408
	global_load_dwordx2 v[5:6], v[5:6], off
	s_waitcnt lgkmcnt(0)
	v_add_f32_e32 v20, v3, v8
	v_sub_f32_e32 v3, v3, v8
	v_sub_f32_e32 v9, v2, v7
	v_add_f32_e32 v21, v2, v7
	v_mul_f32_e32 v20, 0.5, v20
	v_mul_f32_e32 v8, 0.5, v3
	v_lshlrev_b64 v[2:3], 3, v[57:58]
	v_mul_f32_e32 v9, 0.5, v9
	s_waitcnt vmcnt(6)
	v_fma_f32 v23, v20, v11, v8
	v_add_co_u32 v2, s1, s2, v2
	v_add_co_ci_u32_e64 v3, s1, s3, v3, s1
	v_mul_f32_e32 v22, v11, v9
	v_fma_f32 v11, v20, v11, -v8
	v_fma_f32 v8, -v10, v9, v23
	global_load_dwordx2 v[2:3], v[2:3], off
	v_fma_f32 v7, 0.5, v21, v22
	v_fma_f32 v21, v21, 0.5, -v22
	v_fma_f32 v11, -v10, v9, v11
	v_fmac_f32_e32 v7, v10, v20
	v_fma_f32 v10, -v10, v20, v21
	ds_write_b64 v81, v[7:8]
	ds_write_b64 v4, v[10:11] offset:9408
	ds_read_b64 v[7:8], v80
	ds_read_b64 v[9:10], v4 offset:8960
	s_waitcnt lgkmcnt(0)
	v_sub_f32_e32 v11, v7, v9
	v_add_f32_e32 v20, v8, v10
	v_sub_f32_e32 v8, v8, v10
	v_add_f32_e32 v9, v7, v9
	v_mul_f32_e32 v10, 0.5, v11
	v_mul_f32_e32 v11, 0.5, v20
	v_mul_f32_e32 v8, 0.5, v8
	s_waitcnt vmcnt(6)
	v_mul_f32_e32 v20, v13, v10
	v_fma_f32 v21, v11, v13, v8
	v_fma_f32 v13, v11, v13, -v8
	v_fma_f32 v7, 0.5, v9, v20
	v_fma_f32 v9, v9, 0.5, -v20
	v_fma_f32 v8, -v12, v10, v21
	v_fma_f32 v10, -v12, v10, v13
	v_fmac_f32_e32 v7, v12, v11
	v_fma_f32 v9, -v12, v11, v9
	ds_write_b64 v80, v[7:8]
	ds_write_b64 v4, v[9:10] offset:8960
	ds_read_b64 v[7:8], v79
	ds_read_b64 v[9:10], v4 offset:8512
	s_waitcnt lgkmcnt(0)
	v_sub_f32_e32 v11, v7, v9
	v_add_f32_e32 v12, v8, v10
	v_sub_f32_e32 v8, v8, v10
	v_add_f32_e32 v9, v7, v9
	v_mul_f32_e32 v10, 0.5, v11
	v_mul_f32_e32 v11, 0.5, v12
	v_mul_f32_e32 v8, 0.5, v8
	s_waitcnt vmcnt(5)
	v_mul_f32_e32 v12, v15, v10
	v_fma_f32 v13, v11, v15, v8
	v_fma_f32 v15, v11, v15, -v8
	v_fma_f32 v7, 0.5, v9, v12
	v_fma_f32 v9, v9, 0.5, -v12
	v_fma_f32 v8, -v14, v10, v13
	v_fma_f32 v10, -v14, v10, v15
	v_fmac_f32_e32 v7, v14, v11
	v_fma_f32 v9, -v14, v11, v9
	ds_write_b64 v79, v[7:8]
	ds_write_b64 v4, v[9:10] offset:8512
	ds_read_b64 v[7:8], v89
	ds_read_b64 v[9:10], v4 offset:8064
	s_waitcnt lgkmcnt(0)
	v_sub_f32_e32 v11, v7, v9
	v_add_f32_e32 v12, v8, v10
	v_sub_f32_e32 v8, v8, v10
	v_add_f32_e32 v9, v7, v9
	v_mul_f32_e32 v10, 0.5, v11
	v_mul_f32_e32 v11, 0.5, v12
	v_mul_f32_e32 v8, 0.5, v8
	s_waitcnt vmcnt(4)
	v_mul_f32_e32 v12, v1, v10
	v_fma_f32 v13, v11, v1, v8
	v_fma_f32 v1, v11, v1, -v8
	v_fma_f32 v7, 0.5, v9, v12
	v_fma_f32 v9, v9, 0.5, -v12
	v_fma_f32 v8, -v0, v10, v13
	v_fma_f32 v1, -v0, v10, v1
	v_fmac_f32_e32 v7, v0, v11
	v_fma_f32 v0, -v0, v11, v9
	ds_write_b64 v89, v[7:8]
	ds_write_b64 v4, v[0:1] offset:8064
	ds_read_b64 v[0:1], v88
	ds_read_b64 v[7:8], v4 offset:7616
	s_waitcnt lgkmcnt(0)
	v_sub_f32_e32 v9, v0, v7
	v_add_f32_e32 v10, v1, v8
	v_sub_f32_e32 v1, v1, v8
	v_add_f32_e32 v7, v0, v7
	v_mul_f32_e32 v8, 0.5, v9
	v_mul_f32_e32 v9, 0.5, v10
	v_mul_f32_e32 v1, 0.5, v1
	s_waitcnt vmcnt(3)
	v_mul_f32_e32 v10, v19, v8
	v_fma_f32 v11, v9, v19, v1
	v_fma_f32 v12, v9, v19, -v1
	v_fma_f32 v0, 0.5, v7, v10
	v_fma_f32 v7, v7, 0.5, -v10
	v_fma_f32 v1, -v18, v8, v11
	v_fma_f32 v8, -v18, v8, v12
	v_fmac_f32_e32 v0, v18, v9
	v_fma_f32 v7, -v18, v9, v7
	ds_write_b64 v88, v[0:1]
	ds_write_b64 v4, v[7:8] offset:7616
	ds_read_b64 v[0:1], v87
	ds_read_b64 v[7:8], v4 offset:7168
	s_waitcnt lgkmcnt(0)
	v_sub_f32_e32 v9, v0, v7
	v_add_f32_e32 v10, v1, v8
	v_sub_f32_e32 v1, v1, v8
	v_add_f32_e32 v7, v0, v7
	v_mul_f32_e32 v8, 0.5, v9
	v_mul_f32_e32 v9, 0.5, v10
	v_mul_f32_e32 v1, 0.5, v1
	s_waitcnt vmcnt(2)
	v_mul_f32_e32 v10, v17, v8
	v_fma_f32 v11, v9, v17, v1
	v_fma_f32 v12, v9, v17, -v1
	v_fma_f32 v0, 0.5, v7, v10
	v_fma_f32 v7, v7, 0.5, -v10
	v_fma_f32 v1, -v16, v8, v11
	v_fma_f32 v8, -v16, v8, v12
	v_fmac_f32_e32 v0, v16, v9
	v_fma_f32 v7, -v16, v9, v7
	ds_write_b64 v87, v[0:1]
	ds_write_b64 v4, v[7:8] offset:7168
	ds_read_b64 v[0:1], v86
	ds_read_b64 v[7:8], v4 offset:6720
	s_waitcnt lgkmcnt(0)
	v_sub_f32_e32 v9, v0, v7
	v_add_f32_e32 v10, v1, v8
	v_sub_f32_e32 v1, v1, v8
	v_add_f32_e32 v7, v0, v7
	v_mul_f32_e32 v8, 0.5, v9
	v_mul_f32_e32 v9, 0.5, v10
	v_mul_f32_e32 v1, 0.5, v1
	s_waitcnt vmcnt(1)
	v_mul_f32_e32 v10, v6, v8
	v_fma_f32 v11, v9, v6, v1
	v_fma_f32 v6, v9, v6, -v1
	v_fma_f32 v0, 0.5, v7, v10
	v_fma_f32 v7, v7, 0.5, -v10
	v_fma_f32 v1, -v5, v8, v11
	v_fma_f32 v6, -v5, v8, v6
	v_fmac_f32_e32 v0, v5, v9
	v_fma_f32 v5, -v5, v9, v7
	ds_write_b64 v86, v[0:1]
	ds_write_b64 v4, v[5:6] offset:6720
	ds_read_b64 v[0:1], v85
	ds_read_b64 v[5:6], v4 offset:6272
	s_waitcnt lgkmcnt(0)
	v_sub_f32_e32 v7, v0, v5
	v_add_f32_e32 v8, v1, v6
	v_sub_f32_e32 v1, v1, v6
	v_add_f32_e32 v5, v0, v5
	v_mul_f32_e32 v6, 0.5, v7
	v_mul_f32_e32 v7, 0.5, v8
	v_mul_f32_e32 v1, 0.5, v1
	s_waitcnt vmcnt(0)
	v_mul_f32_e32 v8, v3, v6
	v_fma_f32 v9, v7, v3, v1
	v_fma_f32 v3, v7, v3, -v1
	v_fma_f32 v0, 0.5, v5, v8
	v_fma_f32 v5, v5, 0.5, -v8
	v_fma_f32 v1, -v2, v6, v9
	v_fma_f32 v3, -v2, v6, v3
	v_fmac_f32_e32 v0, v2, v7
	v_fma_f32 v2, -v2, v7, v5
	ds_write_b64 v85, v[0:1]
	ds_write_b64 v4, v[2:3] offset:6272
	s_and_saveexec_b32 s1, s0
	s_cbranch_execz .LBB0_33
; %bb.32:
	v_mov_b32_e32 v57, v55
	v_lshlrev_b64 v[0:1], 3, v[56:57]
	v_add_co_u32 v0, s0, s2, v0
	v_add_co_ci_u32_e64 v1, s0, s3, v1, s0
	global_load_dwordx2 v[0:1], v[0:1], off
	ds_read_b64 v[2:3], v78
	ds_read_b64 v[5:6], v4 offset:5824
	s_waitcnt lgkmcnt(0)
	v_sub_f32_e32 v7, v2, v5
	v_add_f32_e32 v8, v3, v6
	v_sub_f32_e32 v3, v3, v6
	v_add_f32_e32 v2, v2, v5
	v_mul_f32_e32 v6, 0.5, v7
	v_mul_f32_e32 v7, 0.5, v8
	;; [unrolled: 1-line block ×3, first 2 shown]
	s_waitcnt vmcnt(0)
	v_mul_f32_e32 v5, v1, v6
	v_fma_f32 v8, v7, v1, v3
	v_fma_f32 v3, v7, v1, -v3
	v_fma_f32 v1, 0.5, v2, v5
	v_fma_f32 v5, v2, 0.5, -v5
	v_fma_f32 v2, -v0, v6, v8
	v_fma_f32 v6, -v0, v6, v3
	v_fmac_f32_e32 v1, v0, v7
	v_fma_f32 v5, -v0, v7, v5
	ds_write_b64 v78, v[1:2]
	ds_write_b64 v4, v[5:6] offset:5824
.LBB0_33:
	s_or_b32 exec_lo, exec_lo, s1
	s_waitcnt lgkmcnt(0)
	s_barrier
	buffer_gl0_inv
	s_and_saveexec_b32 s0, vcc_lo
	s_cbranch_execz .LBB0_36
; %bb.34:
	v_mul_lo_u32 v2, s5, v52
	v_mul_lo_u32 v3, s4, v53
	v_mad_u64_u32 v[0:1], null, s4, v52, 0
	v_lshl_add_u32 v22, v48, 3, 0
	v_mov_b32_e32 v49, 0
	v_lshlrev_b64 v[6:7], 3, v[50:51]
	v_add_nc_u32_e32 v8, 56, v48
	v_add_nc_u32_e32 v10, 0x70, v48
	;; [unrolled: 1-line block ×3, first 2 shown]
	v_add3_u32 v1, v1, v3, v2
	ds_read2_b64 v[2:5], v22 offset1:56
	v_lshlrev_b64 v[14:15], 3, v[48:49]
	v_mov_b32_e32 v9, v49
	v_mov_b32_e32 v11, v49
	v_lshlrev_b64 v[0:1], 3, v[0:1]
	v_mov_b32_e32 v13, v49
	v_add_nc_u32_e32 v19, 0x400, v22
	v_add_nc_u32_e32 v18, 0xe0, v48
	;; [unrolled: 1-line block ×3, first 2 shown]
	v_mov_b32_e32 v21, v49
	v_add_co_u32 v0, vcc_lo, s10, v0
	v_add_co_ci_u32_e32 v1, vcc_lo, s11, v1, vcc_lo
	v_lshlrev_b64 v[16:17], 3, v[12:13]
	v_add_co_u32 v0, vcc_lo, v0, v6
	v_add_co_ci_u32_e32 v1, vcc_lo, v1, v7, vcc_lo
	v_lshlrev_b64 v[6:7], 3, v[8:9]
	v_add_co_u32 v8, vcc_lo, v0, v14
	v_add_co_ci_u32_e32 v9, vcc_lo, v1, v15, vcc_lo
	v_add_co_u32 v14, vcc_lo, v0, v6
	v_add_co_ci_u32_e32 v15, vcc_lo, v1, v7, vcc_lo
	s_waitcnt lgkmcnt(0)
	global_store_dwordx2 v[8:9], v[2:3], off
	ds_read2_b64 v[6:9], v22 offset0:112 offset1:168
	v_lshlrev_b64 v[2:3], 3, v[10:11]
	ds_read2_b64 v[10:13], v19 offset0:96 offset1:152
	v_mov_b32_e32 v19, v49
	v_add_co_u32 v2, vcc_lo, v0, v2
	v_lshlrev_b64 v[18:19], 3, v[18:19]
	v_add_co_ci_u32_e32 v3, vcc_lo, v1, v3, vcc_lo
	v_add_co_u32 v16, vcc_lo, v0, v16
	v_add_co_ci_u32_e32 v17, vcc_lo, v1, v17, vcc_lo
	v_add_co_u32 v18, vcc_lo, v0, v18
	v_add_co_ci_u32_e32 v19, vcc_lo, v1, v19, vcc_lo
	global_store_dwordx2 v[14:15], v[4:5], off
	s_waitcnt lgkmcnt(1)
	global_store_dwordx2 v[2:3], v[6:7], off
	global_store_dwordx2 v[16:17], v[8:9], off
	s_waitcnt lgkmcnt(0)
	global_store_dwordx2 v[18:19], v[10:11], off
	v_lshlrev_b64 v[2:3], 3, v[20:21]
	v_add_nc_u32_e32 v19, 0x800, v22
	v_add_nc_u32_e32 v6, 0x150, v48
	v_mov_b32_e32 v7, v49
	v_add_nc_u32_e32 v8, 0x188, v48
	v_mov_b32_e32 v9, v49
	v_add_co_u32 v10, vcc_lo, v0, v2
	v_add_co_ci_u32_e32 v11, vcc_lo, v1, v3, vcc_lo
	ds_read2_b64 v[2:5], v19 offset0:80 offset1:136
	v_lshlrev_b64 v[14:15], 3, v[6:7]
	v_lshlrev_b64 v[16:17], 3, v[8:9]
	ds_read2_b64 v[6:9], v19 offset0:192 offset1:248
	v_add_nc_u32_e32 v18, 0x1c0, v48
	v_mov_b32_e32 v19, v49
	v_add_nc_u32_e32 v20, 0x1f8, v48
	v_add_co_u32 v14, vcc_lo, v0, v14
	v_add_co_ci_u32_e32 v15, vcc_lo, v1, v15, vcc_lo
	v_lshlrev_b64 v[18:19], 3, v[18:19]
	v_add_co_u32 v16, vcc_lo, v0, v16
	v_add_co_ci_u32_e32 v17, vcc_lo, v1, v17, vcc_lo
	v_add_co_u32 v18, vcc_lo, v0, v18
	v_add_co_ci_u32_e32 v19, vcc_lo, v1, v19, vcc_lo
	global_store_dwordx2 v[10:11], v[12:13], off
	s_waitcnt lgkmcnt(1)
	global_store_dwordx2 v[14:15], v[2:3], off
	global_store_dwordx2 v[16:17], v[4:5], off
	s_waitcnt lgkmcnt(0)
	global_store_dwordx2 v[18:19], v[6:7], off
	v_lshlrev_b64 v[2:3], 3, v[20:21]
	v_add_nc_u32_e32 v12, 0x1000, v22
	v_add_nc_u32_e32 v10, 0x268, v48
	v_mov_b32_e32 v11, v49
	v_add_nc_u32_e32 v6, 0x230, v48
	v_mov_b32_e32 v7, v49
	v_add_co_u32 v14, vcc_lo, v0, v2
	v_add_co_ci_u32_e32 v15, vcc_lo, v1, v3, vcc_lo
	ds_read2_b64 v[2:5], v12 offset0:48 offset1:104
	v_lshlrev_b64 v[16:17], 3, v[10:11]
	ds_read2_b64 v[10:13], v12 offset0:160 offset1:216
	v_lshlrev_b64 v[6:7], 3, v[6:7]
	v_add_nc_u32_e32 v18, 0x2a0, v48
	v_mov_b32_e32 v19, v49
	v_add_nc_u32_e32 v20, 0x2d8, v48
	v_add_co_u32 v6, vcc_lo, v0, v6
	v_lshlrev_b64 v[18:19], 3, v[18:19]
	v_add_co_ci_u32_e32 v7, vcc_lo, v1, v7, vcc_lo
	v_add_co_u32 v16, vcc_lo, v0, v16
	v_add_co_ci_u32_e32 v17, vcc_lo, v1, v17, vcc_lo
	v_add_co_u32 v18, vcc_lo, v0, v18
	v_add_co_ci_u32_e32 v19, vcc_lo, v1, v19, vcc_lo
	global_store_dwordx2 v[14:15], v[8:9], off
	s_waitcnt lgkmcnt(1)
	global_store_dwordx2 v[6:7], v[2:3], off
	global_store_dwordx2 v[16:17], v[4:5], off
	s_waitcnt lgkmcnt(0)
	global_store_dwordx2 v[18:19], v[10:11], off
	v_lshlrev_b64 v[2:3], 3, v[20:21]
	v_add_nc_u32_e32 v19, 0x1800, v22
	v_add_nc_u32_e32 v6, 0x310, v48
	v_mov_b32_e32 v7, v49
	v_add_nc_u32_e32 v8, 0x348, v48
	v_mov_b32_e32 v9, v49
	v_add_co_u32 v10, vcc_lo, v0, v2
	v_add_co_ci_u32_e32 v11, vcc_lo, v1, v3, vcc_lo
	ds_read2_b64 v[2:5], v19 offset0:16 offset1:72
	v_lshlrev_b64 v[14:15], 3, v[6:7]
	v_lshlrev_b64 v[16:17], 3, v[8:9]
	ds_read2_b64 v[6:9], v19 offset0:128 offset1:184
	v_add_nc_u32_e32 v18, 0x380, v48
	v_mov_b32_e32 v19, v49
	v_add_nc_u32_e32 v20, 0x3b8, v48
	v_add_co_u32 v14, vcc_lo, v0, v14
	v_add_co_ci_u32_e32 v15, vcc_lo, v1, v15, vcc_lo
	v_lshlrev_b64 v[18:19], 3, v[18:19]
	v_add_co_u32 v16, vcc_lo, v0, v16
	v_add_co_ci_u32_e32 v17, vcc_lo, v1, v17, vcc_lo
	v_add_co_u32 v18, vcc_lo, v0, v18
	v_add_co_ci_u32_e32 v19, vcc_lo, v1, v19, vcc_lo
	global_store_dwordx2 v[10:11], v[12:13], off
	s_waitcnt lgkmcnt(1)
	global_store_dwordx2 v[14:15], v[2:3], off
	global_store_dwordx2 v[16:17], v[4:5], off
	s_waitcnt lgkmcnt(0)
	global_store_dwordx2 v[18:19], v[6:7], off
	v_lshlrev_b64 v[2:3], 3, v[20:21]
	v_add_nc_u32_e32 v4, 0x1c00, v22
	v_add_nc_u32_e32 v10, 0x428, v48
	v_mov_b32_e32 v11, v49
	v_add_nc_u32_e32 v12, 0x2000, v22
	v_add_nc_u32_e32 v6, 0x3f0, v48
	v_mov_b32_e32 v7, v49
	v_add_co_u32 v14, vcc_lo, v0, v2
	v_add_co_ci_u32_e32 v15, vcc_lo, v1, v3, vcc_lo
	ds_read2_b64 v[2:5], v4 offset0:112 offset1:168
	v_lshlrev_b64 v[16:17], 3, v[10:11]
	ds_read2_b64 v[10:13], v12 offset0:96 offset1:152
	v_lshlrev_b64 v[6:7], 3, v[6:7]
	v_add_nc_u32_e32 v18, 0x460, v48
	v_mov_b32_e32 v19, v49
	v_add_nc_u32_e32 v20, 0x498, v48
	v_add_co_u32 v6, vcc_lo, v0, v6
	v_lshlrev_b64 v[18:19], 3, v[18:19]
	v_add_co_ci_u32_e32 v7, vcc_lo, v1, v7, vcc_lo
	v_add_co_u32 v16, vcc_lo, v0, v16
	v_add_co_ci_u32_e32 v17, vcc_lo, v1, v17, vcc_lo
	v_add_co_u32 v18, vcc_lo, v0, v18
	v_add_co_ci_u32_e32 v19, vcc_lo, v1, v19, vcc_lo
	global_store_dwordx2 v[14:15], v[8:9], off
	s_waitcnt lgkmcnt(1)
	global_store_dwordx2 v[6:7], v[2:3], off
	global_store_dwordx2 v[16:17], v[4:5], off
	s_waitcnt lgkmcnt(0)
	global_store_dwordx2 v[18:19], v[10:11], off
	v_lshlrev_b64 v[2:3], 3, v[20:21]
	v_add_nc_u32_e32 v6, 0x4d0, v48
	v_mov_b32_e32 v7, v49
	v_add_nc_u32_e32 v4, 0x2400, v22
	v_add_nc_u32_e32 v8, 0x508, v48
	v_mov_b32_e32 v9, v49
	v_add_co_u32 v10, vcc_lo, v0, v2
	v_lshlrev_b64 v[6:7], 3, v[6:7]
	v_add_co_ci_u32_e32 v11, vcc_lo, v1, v3, vcc_lo
	ds_read2_b64 v[2:5], v4 offset0:80 offset1:136
	v_add_nc_u32_e32 v16, 0x540, v48
	v_mov_b32_e32 v17, v49
	v_lshlrev_b64 v[8:9], 3, v[8:9]
	ds_read_b64 v[14:15], v22 offset:10752
	v_add_co_u32 v6, vcc_lo, v0, v6
	v_lshlrev_b64 v[16:17], 3, v[16:17]
	v_add_co_ci_u32_e32 v7, vcc_lo, v1, v7, vcc_lo
	v_add_co_u32 v8, vcc_lo, v0, v8
	v_add_co_ci_u32_e32 v9, vcc_lo, v1, v9, vcc_lo
	v_add_co_u32 v16, vcc_lo, v0, v16
	v_add_co_ci_u32_e32 v17, vcc_lo, v1, v17, vcc_lo
	v_cmp_eq_u32_e32 vcc_lo, 55, v48
	global_store_dwordx2 v[10:11], v[12:13], off
	s_waitcnt lgkmcnt(1)
	global_store_dwordx2 v[6:7], v[2:3], off
	global_store_dwordx2 v[8:9], v[4:5], off
	s_waitcnt lgkmcnt(0)
	global_store_dwordx2 v[16:17], v[14:15], off
	s_and_b32 exec_lo, exec_lo, vcc_lo
	s_cbranch_execz .LBB0_36
; %bb.35:
	ds_read_b64 v[2:3], v49 offset:11200
	v_add_co_u32 v0, vcc_lo, 0x2800, v0
	v_add_co_ci_u32_e32 v1, vcc_lo, 0, v1, vcc_lo
	s_waitcnt lgkmcnt(0)
	global_store_dwordx2 v[0:1], v[2:3], off offset:960
.LBB0_36:
	s_endpgm
	.section	.rodata,"a",@progbits
	.p2align	6, 0x0
	.amdhsa_kernel fft_rtc_back_len1400_factors_2_2_2_5_7_5_wgs_56_tpt_56_halfLds_sp_op_CI_CI_unitstride_sbrr_R2C_dirReg
		.amdhsa_group_segment_fixed_size 0
		.amdhsa_private_segment_fixed_size 0
		.amdhsa_kernarg_size 104
		.amdhsa_user_sgpr_count 6
		.amdhsa_user_sgpr_private_segment_buffer 1
		.amdhsa_user_sgpr_dispatch_ptr 0
		.amdhsa_user_sgpr_queue_ptr 0
		.amdhsa_user_sgpr_kernarg_segment_ptr 1
		.amdhsa_user_sgpr_dispatch_id 0
		.amdhsa_user_sgpr_flat_scratch_init 0
		.amdhsa_user_sgpr_private_segment_size 0
		.amdhsa_wavefront_size32 1
		.amdhsa_uses_dynamic_stack 0
		.amdhsa_system_sgpr_private_segment_wavefront_offset 0
		.amdhsa_system_sgpr_workgroup_id_x 1
		.amdhsa_system_sgpr_workgroup_id_y 0
		.amdhsa_system_sgpr_workgroup_id_z 0
		.amdhsa_system_sgpr_workgroup_info 0
		.amdhsa_system_vgpr_workitem_id 0
		.amdhsa_next_free_vgpr 159
		.amdhsa_next_free_sgpr 27
		.amdhsa_reserve_vcc 1
		.amdhsa_reserve_flat_scratch 0
		.amdhsa_float_round_mode_32 0
		.amdhsa_float_round_mode_16_64 0
		.amdhsa_float_denorm_mode_32 3
		.amdhsa_float_denorm_mode_16_64 3
		.amdhsa_dx10_clamp 1
		.amdhsa_ieee_mode 1
		.amdhsa_fp16_overflow 0
		.amdhsa_workgroup_processor_mode 1
		.amdhsa_memory_ordered 1
		.amdhsa_forward_progress 0
		.amdhsa_shared_vgpr_count 0
		.amdhsa_exception_fp_ieee_invalid_op 0
		.amdhsa_exception_fp_denorm_src 0
		.amdhsa_exception_fp_ieee_div_zero 0
		.amdhsa_exception_fp_ieee_overflow 0
		.amdhsa_exception_fp_ieee_underflow 0
		.amdhsa_exception_fp_ieee_inexact 0
		.amdhsa_exception_int_div_zero 0
	.end_amdhsa_kernel
	.text
.Lfunc_end0:
	.size	fft_rtc_back_len1400_factors_2_2_2_5_7_5_wgs_56_tpt_56_halfLds_sp_op_CI_CI_unitstride_sbrr_R2C_dirReg, .Lfunc_end0-fft_rtc_back_len1400_factors_2_2_2_5_7_5_wgs_56_tpt_56_halfLds_sp_op_CI_CI_unitstride_sbrr_R2C_dirReg
                                        ; -- End function
	.section	.AMDGPU.csdata,"",@progbits
; Kernel info:
; codeLenInByte = 17652
; NumSgprs: 29
; NumVgprs: 159
; ScratchSize: 0
; MemoryBound: 0
; FloatMode: 240
; IeeeMode: 1
; LDSByteSize: 0 bytes/workgroup (compile time only)
; SGPRBlocks: 3
; VGPRBlocks: 19
; NumSGPRsForWavesPerEU: 29
; NumVGPRsForWavesPerEU: 159
; Occupancy: 6
; WaveLimiterHint : 1
; COMPUTE_PGM_RSRC2:SCRATCH_EN: 0
; COMPUTE_PGM_RSRC2:USER_SGPR: 6
; COMPUTE_PGM_RSRC2:TRAP_HANDLER: 0
; COMPUTE_PGM_RSRC2:TGID_X_EN: 1
; COMPUTE_PGM_RSRC2:TGID_Y_EN: 0
; COMPUTE_PGM_RSRC2:TGID_Z_EN: 0
; COMPUTE_PGM_RSRC2:TIDIG_COMP_CNT: 0
	.text
	.p2alignl 6, 3214868480
	.fill 48, 4, 3214868480
	.type	__hip_cuid_ad60d5cb802db06,@object ; @__hip_cuid_ad60d5cb802db06
	.section	.bss,"aw",@nobits
	.globl	__hip_cuid_ad60d5cb802db06
__hip_cuid_ad60d5cb802db06:
	.byte	0                               ; 0x0
	.size	__hip_cuid_ad60d5cb802db06, 1

	.ident	"AMD clang version 19.0.0git (https://github.com/RadeonOpenCompute/llvm-project roc-6.4.0 25133 c7fe45cf4b819c5991fe208aaa96edf142730f1d)"
	.section	".note.GNU-stack","",@progbits
	.addrsig
	.addrsig_sym __hip_cuid_ad60d5cb802db06
	.amdgpu_metadata
---
amdhsa.kernels:
  - .args:
      - .actual_access:  read_only
        .address_space:  global
        .offset:         0
        .size:           8
        .value_kind:     global_buffer
      - .offset:         8
        .size:           8
        .value_kind:     by_value
      - .actual_access:  read_only
        .address_space:  global
        .offset:         16
        .size:           8
        .value_kind:     global_buffer
      - .actual_access:  read_only
        .address_space:  global
        .offset:         24
        .size:           8
        .value_kind:     global_buffer
      - .actual_access:  read_only
        .address_space:  global
        .offset:         32
        .size:           8
        .value_kind:     global_buffer
      - .offset:         40
        .size:           8
        .value_kind:     by_value
      - .actual_access:  read_only
        .address_space:  global
        .offset:         48
        .size:           8
        .value_kind:     global_buffer
      - .actual_access:  read_only
        .address_space:  global
        .offset:         56
        .size:           8
        .value_kind:     global_buffer
      - .offset:         64
        .size:           4
        .value_kind:     by_value
      - .actual_access:  read_only
        .address_space:  global
        .offset:         72
        .size:           8
        .value_kind:     global_buffer
      - .actual_access:  read_only
        .address_space:  global
        .offset:         80
        .size:           8
        .value_kind:     global_buffer
      - .actual_access:  read_only
        .address_space:  global
        .offset:         88
        .size:           8
        .value_kind:     global_buffer
      - .actual_access:  write_only
        .address_space:  global
        .offset:         96
        .size:           8
        .value_kind:     global_buffer
    .group_segment_fixed_size: 0
    .kernarg_segment_align: 8
    .kernarg_segment_size: 104
    .language:       OpenCL C
    .language_version:
      - 2
      - 0
    .max_flat_workgroup_size: 56
    .name:           fft_rtc_back_len1400_factors_2_2_2_5_7_5_wgs_56_tpt_56_halfLds_sp_op_CI_CI_unitstride_sbrr_R2C_dirReg
    .private_segment_fixed_size: 0
    .sgpr_count:     29
    .sgpr_spill_count: 0
    .symbol:         fft_rtc_back_len1400_factors_2_2_2_5_7_5_wgs_56_tpt_56_halfLds_sp_op_CI_CI_unitstride_sbrr_R2C_dirReg.kd
    .uniform_work_group_size: 1
    .uses_dynamic_stack: false
    .vgpr_count:     159
    .vgpr_spill_count: 0
    .wavefront_size: 32
    .workgroup_processor_mode: 1
amdhsa.target:   amdgcn-amd-amdhsa--gfx1030
amdhsa.version:
  - 1
  - 2
...

	.end_amdgpu_metadata
